;; amdgpu-corpus repo=ROCm/rccl kind=compiled arch=gfx906 opt=O3
	.amdgcn_target "amdgcn-amd-amdhsa--gfx906"
	.amdhsa_code_object_version 6
	.text
	.p2align	2                               ; -- Begin function __ockl_fprintf_append_string_n
	.type	__ockl_fprintf_append_string_n,@function
__ockl_fprintf_append_string_n:         ; @__ockl_fprintf_append_string_n
; %bb.0:
	s_waitcnt vmcnt(0) expcnt(0) lgkmcnt(0)
	v_or_b32_e32 v2, 2, v0
	v_cmp_eq_u32_e32 vcc, 0, v6
	s_getpc_b64 s[4:5]
	s_add_u32 s4, s4, .str.3@rel32@lo+4
	s_addc_u32 s5, s5, .str.3@rel32@hi+12
	s_mov_b32 s20, 0
	v_cndmask_b32_e32 v36, v2, v0, vcc
	s_mov_b64 s[6:7], 0
	s_cmp_lg_u64 s[4:5], 0
	v_mbcnt_lo_u32_b32 v37, -1, 0
	s_cbranch_scc0 .LBB0_112
; %bb.1:
	s_load_dwordx2 s[10:11], s[8:9], 0x50
	s_getpc_b64 s[4:5]
	s_add_u32 s4, s4, .str.3@rel32@lo+4
	s_addc_u32 s5, s5, .str.3@rel32@hi+12
	v_and_b32_e32 v0, -3, v36
	v_mov_b32_e32 v31, s5
	v_mov_b32_e32 v11, v1
	v_and_b32_e32 v38, 2, v36
	v_mov_b32_e32 v3, 0
	v_mbcnt_hi_u32_b32 v39, -1, v37
	v_mov_b32_e32 v30, s4
	s_movk_i32 s21, 0x1e0
	v_mov_b32_e32 v8, 2
	v_mov_b32_e32 v9, 1
	;; [unrolled: 1-line block ×3, first 2 shown]
	s_branch .LBB0_3
.LBB0_2:                                ;   in Loop: Header=BB0_3 Depth=1
	s_or_b64 exec, exec, s[14:15]
	v_sub_co_u32_e32 v4, vcc, v4, v32
	v_subb_co_u32_e32 v5, vcc, v5, v33, vcc
	v_cmp_eq_u64_e32 vcc, 0, v[4:5]
	s_or_b64 s[6:7], vcc, s[6:7]
	v_add_co_u32_e32 v30, vcc, v30, v32
	v_addc_co_u32_e32 v31, vcc, v31, v33, vcc
	s_andn2_b64 exec, exec, s[6:7]
	s_cbranch_execz .LBB0_85
.LBB0_3:                                ; =>This Loop Header: Depth=1
                                        ;     Child Loop BB0_6 Depth 2
                                        ;     Child Loop BB0_14 Depth 2
	;; [unrolled: 1-line block ×11, first 2 shown]
	v_cmp_gt_u64_e32 vcc, 56, v[4:5]
	v_add_co_u32_e64 v16, s[4:5], 8, v30
	v_cndmask_b32_e32 v33, 0, v5, vcc
	v_cndmask_b32_e32 v32, 56, v4, vcc
	v_cmp_gt_u64_e32 vcc, 8, v[4:5]
	v_addc_co_u32_e64 v17, s[4:5], 0, v31, s[4:5]
	s_and_saveexec_b64 s[4:5], vcc
	s_xor_b64 s[4:5], exec, s[4:5]
	s_cbranch_execz .LBB0_9
; %bb.4:                                ;   in Loop: Header=BB0_3 Depth=1
	s_waitcnt vmcnt(0)
	v_mov_b32_e32 v12, 0
	v_cmp_ne_u64_e32 vcc, 0, v[4:5]
	v_mov_b32_e32 v13, 0
	s_and_saveexec_b64 s[12:13], vcc
	s_cbranch_execz .LBB0_8
; %bb.5:                                ;   in Loop: Header=BB0_3 Depth=1
	v_lshlrev_b64 v[6:7], 3, v[32:33]
	v_mov_b32_e32 v12, 0
	v_mov_b32_e32 v14, v30
	s_mov_b64 s[14:15], 0
	v_mov_b32_e32 v13, 0
	v_mov_b32_e32 v15, v31
	s_mov_b64 s[16:17], 0
.LBB0_6:                                ;   Parent Loop BB0_3 Depth=1
                                        ; =>  This Inner Loop Header: Depth=2
	global_load_ubyte v0, v[14:15], off
	v_mov_b32_e32 v17, s20
	v_add_co_u32_e32 v14, vcc, 1, v14
	v_addc_co_u32_e32 v15, vcc, 0, v15, vcc
	s_waitcnt vmcnt(0)
	v_and_b32_e32 v16, 0xffff, v0
	v_lshlrev_b64 v[16:17], s16, v[16:17]
	s_add_u32 s16, s16, 8
	s_addc_u32 s17, s17, 0
	v_cmp_eq_u32_e32 vcc, s16, v6
	v_or_b32_e32 v13, v17, v13
	s_or_b64 s[14:15], vcc, s[14:15]
	v_or_b32_e32 v12, v16, v12
	s_andn2_b64 exec, exec, s[14:15]
	s_cbranch_execnz .LBB0_6
; %bb.7:                                ;   in Loop: Header=BB0_3 Depth=1
	s_or_b64 exec, exec, s[14:15]
.LBB0_8:                                ;   in Loop: Header=BB0_3 Depth=1
	s_or_b64 exec, exec, s[12:13]
	v_mov_b32_e32 v16, v30
	v_mov_b32_e32 v17, v31
.LBB0_9:                                ;   in Loop: Header=BB0_3 Depth=1
	s_or_saveexec_b64 s[4:5], s[4:5]
	v_mov_b32_e32 v0, 0
	s_xor_b64 exec, exec, s[4:5]
	s_cbranch_execz .LBB0_11
; %bb.10:                               ;   in Loop: Header=BB0_3 Depth=1
	global_load_dwordx2 v[12:13], v[30:31], off
	v_add_u32_e32 v0, -8, v32
.LBB0_11:                               ;   in Loop: Header=BB0_3 Depth=1
	s_or_b64 exec, exec, s[4:5]
	v_add_co_u32_e64 v6, s[4:5], 8, v16
	v_cmp_gt_u32_e32 vcc, 8, v0
	v_addc_co_u32_e64 v7, s[4:5], 0, v17, s[4:5]
                                        ; implicit-def: $vgpr14_vgpr15
	s_and_saveexec_b64 s[4:5], vcc
	s_xor_b64 s[4:5], exec, s[4:5]
	s_cbranch_execz .LBB0_17
; %bb.12:                               ;   in Loop: Header=BB0_3 Depth=1
	v_mov_b32_e32 v14, 0
	v_mov_b32_e32 v15, 0
	v_cmp_ne_u32_e32 vcc, 0, v0
	s_and_saveexec_b64 s[12:13], vcc
	s_cbranch_execz .LBB0_16
; %bb.13:                               ;   in Loop: Header=BB0_3 Depth=1
	v_mov_b32_e32 v14, 0
	s_mov_b64 s[14:15], 0
	v_mov_b32_e32 v15, 0
	s_mov_b64 s[16:17], 0
	s_mov_b64 s[18:19], 0
.LBB0_14:                               ;   Parent Loop BB0_3 Depth=1
                                        ; =>  This Inner Loop Header: Depth=2
	v_mov_b32_e32 v2, s19
	v_add_co_u32_e32 v6, vcc, s18, v16
	v_addc_co_u32_e32 v7, vcc, v17, v2, vcc
	global_load_ubyte v2, v[6:7], off
	s_add_u32 s18, s18, 1
	v_mov_b32_e32 v7, s20
	s_addc_u32 s19, s19, 0
	v_cmp_eq_u32_e32 vcc, s18, v0
	s_waitcnt vmcnt(0)
	v_and_b32_e32 v6, 0xffff, v2
	v_lshlrev_b64 v[6:7], s16, v[6:7]
	s_add_u32 s16, s16, 8
	s_addc_u32 s17, s17, 0
	v_or_b32_e32 v15, v7, v15
	s_or_b64 s[14:15], vcc, s[14:15]
	v_or_b32_e32 v14, v6, v14
	s_andn2_b64 exec, exec, s[14:15]
	s_cbranch_execnz .LBB0_14
; %bb.15:                               ;   in Loop: Header=BB0_3 Depth=1
	s_or_b64 exec, exec, s[14:15]
.LBB0_16:                               ;   in Loop: Header=BB0_3 Depth=1
	s_or_b64 exec, exec, s[12:13]
	v_mov_b32_e32 v6, v16
	v_mov_b32_e32 v7, v17
                                        ; implicit-def: $vgpr0
.LBB0_17:                               ;   in Loop: Header=BB0_3 Depth=1
	s_or_saveexec_b64 s[4:5], s[4:5]
	v_mov_b32_e32 v2, 0
	s_xor_b64 exec, exec, s[4:5]
	s_cbranch_execz .LBB0_19
; %bb.18:                               ;   in Loop: Header=BB0_3 Depth=1
	global_load_dwordx2 v[14:15], v[16:17], off
	v_add_u32_e32 v2, -8, v0
.LBB0_19:                               ;   in Loop: Header=BB0_3 Depth=1
	s_or_b64 exec, exec, s[4:5]
	v_add_co_u32_e64 v20, s[4:5], 8, v6
	v_cmp_gt_u32_e32 vcc, 8, v2
	v_addc_co_u32_e64 v21, s[4:5], 0, v7, s[4:5]
	s_and_saveexec_b64 s[4:5], vcc
	s_xor_b64 s[4:5], exec, s[4:5]
	s_cbranch_execz .LBB0_25
; %bb.20:                               ;   in Loop: Header=BB0_3 Depth=1
	v_mov_b32_e32 v16, 0
	v_mov_b32_e32 v17, 0
	v_cmp_ne_u32_e32 vcc, 0, v2
	s_and_saveexec_b64 s[12:13], vcc
	s_cbranch_execz .LBB0_24
; %bb.21:                               ;   in Loop: Header=BB0_3 Depth=1
	v_mov_b32_e32 v16, 0
	s_mov_b64 s[14:15], 0
	v_mov_b32_e32 v17, 0
	s_mov_b64 s[16:17], 0
	s_mov_b64 s[18:19], 0
.LBB0_22:                               ;   Parent Loop BB0_3 Depth=1
                                        ; =>  This Inner Loop Header: Depth=2
	v_mov_b32_e32 v0, s19
	v_add_co_u32_e32 v18, vcc, s18, v6
	v_addc_co_u32_e32 v19, vcc, v7, v0, vcc
	global_load_ubyte v0, v[18:19], off
	s_add_u32 s18, s18, 1
	v_mov_b32_e32 v19, s20
	s_addc_u32 s19, s19, 0
	v_cmp_eq_u32_e32 vcc, s18, v2
	s_waitcnt vmcnt(0)
	v_and_b32_e32 v18, 0xffff, v0
	v_lshlrev_b64 v[18:19], s16, v[18:19]
	s_add_u32 s16, s16, 8
	s_addc_u32 s17, s17, 0
	v_or_b32_e32 v17, v19, v17
	s_or_b64 s[14:15], vcc, s[14:15]
	v_or_b32_e32 v16, v18, v16
	s_andn2_b64 exec, exec, s[14:15]
	s_cbranch_execnz .LBB0_22
; %bb.23:                               ;   in Loop: Header=BB0_3 Depth=1
	s_or_b64 exec, exec, s[14:15]
.LBB0_24:                               ;   in Loop: Header=BB0_3 Depth=1
	s_or_b64 exec, exec, s[12:13]
	v_mov_b32_e32 v21, v7
	v_mov_b32_e32 v20, v6
                                        ; implicit-def: $vgpr2
.LBB0_25:                               ;   in Loop: Header=BB0_3 Depth=1
	s_or_saveexec_b64 s[4:5], s[4:5]
	v_mov_b32_e32 v0, 0
	s_xor_b64 exec, exec, s[4:5]
	s_cbranch_execz .LBB0_27
; %bb.26:                               ;   in Loop: Header=BB0_3 Depth=1
	global_load_dwordx2 v[16:17], v[6:7], off
	v_add_u32_e32 v0, -8, v2
.LBB0_27:                               ;   in Loop: Header=BB0_3 Depth=1
	s_or_b64 exec, exec, s[4:5]
	v_add_co_u32_e64 v6, s[4:5], 8, v20
	v_cmp_gt_u32_e32 vcc, 8, v0
	v_addc_co_u32_e64 v7, s[4:5], 0, v21, s[4:5]
                                        ; implicit-def: $vgpr18_vgpr19
	s_and_saveexec_b64 s[4:5], vcc
	s_xor_b64 s[4:5], exec, s[4:5]
	s_cbranch_execz .LBB0_33
; %bb.28:                               ;   in Loop: Header=BB0_3 Depth=1
	v_mov_b32_e32 v18, 0
	v_mov_b32_e32 v19, 0
	v_cmp_ne_u32_e32 vcc, 0, v0
	s_and_saveexec_b64 s[12:13], vcc
	s_cbranch_execz .LBB0_32
; %bb.29:                               ;   in Loop: Header=BB0_3 Depth=1
	v_mov_b32_e32 v18, 0
	s_mov_b64 s[14:15], 0
	v_mov_b32_e32 v19, 0
	s_mov_b64 s[16:17], 0
	s_mov_b64 s[18:19], 0
.LBB0_30:                               ;   Parent Loop BB0_3 Depth=1
                                        ; =>  This Inner Loop Header: Depth=2
	v_mov_b32_e32 v2, s19
	v_add_co_u32_e32 v6, vcc, s18, v20
	v_addc_co_u32_e32 v7, vcc, v21, v2, vcc
	global_load_ubyte v2, v[6:7], off
	s_add_u32 s18, s18, 1
	v_mov_b32_e32 v7, s20
	s_addc_u32 s19, s19, 0
	v_cmp_eq_u32_e32 vcc, s18, v0
	s_waitcnt vmcnt(0)
	v_and_b32_e32 v6, 0xffff, v2
	v_lshlrev_b64 v[6:7], s16, v[6:7]
	s_add_u32 s16, s16, 8
	s_addc_u32 s17, s17, 0
	v_or_b32_e32 v19, v7, v19
	s_or_b64 s[14:15], vcc, s[14:15]
	v_or_b32_e32 v18, v6, v18
	s_andn2_b64 exec, exec, s[14:15]
	s_cbranch_execnz .LBB0_30
; %bb.31:                               ;   in Loop: Header=BB0_3 Depth=1
	s_or_b64 exec, exec, s[14:15]
.LBB0_32:                               ;   in Loop: Header=BB0_3 Depth=1
	s_or_b64 exec, exec, s[12:13]
	v_mov_b32_e32 v6, v20
	v_mov_b32_e32 v7, v21
                                        ; implicit-def: $vgpr0
.LBB0_33:                               ;   in Loop: Header=BB0_3 Depth=1
	s_or_saveexec_b64 s[4:5], s[4:5]
	v_mov_b32_e32 v2, 0
	s_xor_b64 exec, exec, s[4:5]
	s_cbranch_execz .LBB0_35
; %bb.34:                               ;   in Loop: Header=BB0_3 Depth=1
	global_load_dwordx2 v[18:19], v[20:21], off
	v_add_u32_e32 v2, -8, v0
.LBB0_35:                               ;   in Loop: Header=BB0_3 Depth=1
	s_or_b64 exec, exec, s[4:5]
	v_add_co_u32_e64 v24, s[4:5], 8, v6
	v_cmp_gt_u32_e32 vcc, 8, v2
	v_addc_co_u32_e64 v25, s[4:5], 0, v7, s[4:5]
	s_and_saveexec_b64 s[4:5], vcc
	s_xor_b64 s[4:5], exec, s[4:5]
	s_cbranch_execz .LBB0_41
; %bb.36:                               ;   in Loop: Header=BB0_3 Depth=1
	v_mov_b32_e32 v20, 0
	v_mov_b32_e32 v21, 0
	v_cmp_ne_u32_e32 vcc, 0, v2
	s_and_saveexec_b64 s[12:13], vcc
	s_cbranch_execz .LBB0_40
; %bb.37:                               ;   in Loop: Header=BB0_3 Depth=1
	v_mov_b32_e32 v20, 0
	s_mov_b64 s[14:15], 0
	v_mov_b32_e32 v21, 0
	s_mov_b64 s[16:17], 0
	s_mov_b64 s[18:19], 0
.LBB0_38:                               ;   Parent Loop BB0_3 Depth=1
                                        ; =>  This Inner Loop Header: Depth=2
	v_mov_b32_e32 v0, s19
	v_add_co_u32_e32 v22, vcc, s18, v6
	v_addc_co_u32_e32 v23, vcc, v7, v0, vcc
	global_load_ubyte v0, v[22:23], off
	s_add_u32 s18, s18, 1
	v_mov_b32_e32 v23, s20
	s_addc_u32 s19, s19, 0
	v_cmp_eq_u32_e32 vcc, s18, v2
	s_waitcnt vmcnt(0)
	v_and_b32_e32 v22, 0xffff, v0
	v_lshlrev_b64 v[22:23], s16, v[22:23]
	s_add_u32 s16, s16, 8
	s_addc_u32 s17, s17, 0
	v_or_b32_e32 v21, v23, v21
	s_or_b64 s[14:15], vcc, s[14:15]
	v_or_b32_e32 v20, v22, v20
	s_andn2_b64 exec, exec, s[14:15]
	s_cbranch_execnz .LBB0_38
; %bb.39:                               ;   in Loop: Header=BB0_3 Depth=1
	s_or_b64 exec, exec, s[14:15]
.LBB0_40:                               ;   in Loop: Header=BB0_3 Depth=1
	s_or_b64 exec, exec, s[12:13]
	v_mov_b32_e32 v25, v7
	v_mov_b32_e32 v24, v6
                                        ; implicit-def: $vgpr2
.LBB0_41:                               ;   in Loop: Header=BB0_3 Depth=1
	s_or_saveexec_b64 s[4:5], s[4:5]
	v_mov_b32_e32 v0, 0
	s_xor_b64 exec, exec, s[4:5]
	s_cbranch_execz .LBB0_43
; %bb.42:                               ;   in Loop: Header=BB0_3 Depth=1
	global_load_dwordx2 v[20:21], v[6:7], off
	v_add_u32_e32 v0, -8, v2
.LBB0_43:                               ;   in Loop: Header=BB0_3 Depth=1
	s_or_b64 exec, exec, s[4:5]
	v_add_co_u32_e64 v6, s[4:5], 8, v24
	v_cmp_gt_u32_e32 vcc, 8, v0
	v_addc_co_u32_e64 v7, s[4:5], 0, v25, s[4:5]
                                        ; implicit-def: $vgpr22_vgpr23
	s_and_saveexec_b64 s[4:5], vcc
	s_xor_b64 s[4:5], exec, s[4:5]
	s_cbranch_execz .LBB0_49
; %bb.44:                               ;   in Loop: Header=BB0_3 Depth=1
	v_mov_b32_e32 v22, 0
	v_mov_b32_e32 v23, 0
	v_cmp_ne_u32_e32 vcc, 0, v0
	s_and_saveexec_b64 s[12:13], vcc
	s_cbranch_execz .LBB0_48
; %bb.45:                               ;   in Loop: Header=BB0_3 Depth=1
	v_mov_b32_e32 v22, 0
	s_mov_b64 s[14:15], 0
	v_mov_b32_e32 v23, 0
	s_mov_b64 s[16:17], 0
	s_mov_b64 s[18:19], 0
.LBB0_46:                               ;   Parent Loop BB0_3 Depth=1
                                        ; =>  This Inner Loop Header: Depth=2
	v_mov_b32_e32 v2, s19
	v_add_co_u32_e32 v6, vcc, s18, v24
	v_addc_co_u32_e32 v7, vcc, v25, v2, vcc
	global_load_ubyte v2, v[6:7], off
	s_add_u32 s18, s18, 1
	v_mov_b32_e32 v7, s20
	s_addc_u32 s19, s19, 0
	v_cmp_eq_u32_e32 vcc, s18, v0
	s_waitcnt vmcnt(0)
	v_and_b32_e32 v6, 0xffff, v2
	v_lshlrev_b64 v[6:7], s16, v[6:7]
	s_add_u32 s16, s16, 8
	s_addc_u32 s17, s17, 0
	v_or_b32_e32 v23, v7, v23
	s_or_b64 s[14:15], vcc, s[14:15]
	v_or_b32_e32 v22, v6, v22
	s_andn2_b64 exec, exec, s[14:15]
	s_cbranch_execnz .LBB0_46
; %bb.47:                               ;   in Loop: Header=BB0_3 Depth=1
	s_or_b64 exec, exec, s[14:15]
.LBB0_48:                               ;   in Loop: Header=BB0_3 Depth=1
	s_or_b64 exec, exec, s[12:13]
	v_mov_b32_e32 v6, v24
	v_mov_b32_e32 v7, v25
                                        ; implicit-def: $vgpr0
.LBB0_49:                               ;   in Loop: Header=BB0_3 Depth=1
	s_or_saveexec_b64 s[4:5], s[4:5]
	v_mov_b32_e32 v2, 0
	s_xor_b64 exec, exec, s[4:5]
	s_cbranch_execz .LBB0_51
; %bb.50:                               ;   in Loop: Header=BB0_3 Depth=1
	global_load_dwordx2 v[22:23], v[24:25], off
	v_add_u32_e32 v2, -8, v0
.LBB0_51:                               ;   in Loop: Header=BB0_3 Depth=1
	s_or_b64 exec, exec, s[4:5]
	v_cmp_gt_u32_e32 vcc, 8, v2
	s_and_saveexec_b64 s[4:5], vcc
	s_xor_b64 s[4:5], exec, s[4:5]
	s_cbranch_execz .LBB0_57
; %bb.52:                               ;   in Loop: Header=BB0_3 Depth=1
	v_mov_b32_e32 v24, 0
	v_mov_b32_e32 v25, 0
	v_cmp_ne_u32_e32 vcc, 0, v2
	s_and_saveexec_b64 s[12:13], vcc
	s_cbranch_execz .LBB0_56
; %bb.53:                               ;   in Loop: Header=BB0_3 Depth=1
	v_mov_b32_e32 v24, 0
	s_mov_b64 s[14:15], 0
	v_mov_b32_e32 v25, 0
	s_mov_b64 s[16:17], 0
.LBB0_54:                               ;   Parent Loop BB0_3 Depth=1
                                        ; =>  This Inner Loop Header: Depth=2
	global_load_ubyte v0, v[6:7], off
	v_mov_b32_e32 v27, s20
	v_add_co_u32_e32 v6, vcc, 1, v6
	v_add_u32_e32 v2, -1, v2
	v_addc_co_u32_e32 v7, vcc, 0, v7, vcc
	v_cmp_eq_u32_e32 vcc, 0, v2
	s_waitcnt vmcnt(0)
	v_and_b32_e32 v26, 0xffff, v0
	v_lshlrev_b64 v[26:27], s16, v[26:27]
	s_add_u32 s16, s16, 8
	s_addc_u32 s17, s17, 0
	v_or_b32_e32 v25, v27, v25
	s_or_b64 s[14:15], vcc, s[14:15]
	v_or_b32_e32 v24, v26, v24
	s_andn2_b64 exec, exec, s[14:15]
	s_cbranch_execnz .LBB0_54
; %bb.55:                               ;   in Loop: Header=BB0_3 Depth=1
	s_or_b64 exec, exec, s[14:15]
.LBB0_56:                               ;   in Loop: Header=BB0_3 Depth=1
	s_or_b64 exec, exec, s[12:13]
                                        ; implicit-def: $vgpr6_vgpr7
.LBB0_57:                               ;   in Loop: Header=BB0_3 Depth=1
	s_andn2_saveexec_b64 s[4:5], s[4:5]
	s_cbranch_execz .LBB0_59
; %bb.58:                               ;   in Loop: Header=BB0_3 Depth=1
	global_load_dwordx2 v[24:25], v[6:7], off
.LBB0_59:                               ;   in Loop: Header=BB0_3 Depth=1
	s_or_b64 exec, exec, s[4:5]
	v_readfirstlane_b32 s4, v39
	v_mov_b32_e32 v6, 0
	v_mov_b32_e32 v7, 0
	v_cmp_eq_u32_e64 s[4:5], s4, v39
	s_and_saveexec_b64 s[12:13], s[4:5]
	s_cbranch_execz .LBB0_65
; %bb.60:                               ;   in Loop: Header=BB0_3 Depth=1
	s_waitcnt lgkmcnt(0)
	global_load_dwordx2 v[28:29], v3, s[10:11] offset:24 glc
	s_waitcnt vmcnt(0)
	buffer_wbinvl1_vol
	global_load_dwordx2 v[6:7], v3, s[10:11] offset:40
	global_load_dwordx2 v[26:27], v3, s[10:11]
	s_waitcnt vmcnt(1)
	v_and_b32_e32 v0, v6, v28
	v_and_b32_e32 v2, v7, v29
	v_mul_lo_u32 v2, v2, 24
	v_mul_hi_u32 v6, v0, 24
	v_mul_lo_u32 v0, v0, 24
	v_add_u32_e32 v2, v6, v2
	s_waitcnt vmcnt(0)
	v_add_co_u32_e32 v6, vcc, v26, v0
	v_addc_co_u32_e32 v7, vcc, v27, v2, vcc
	global_load_dwordx2 v[26:27], v[6:7], off glc
	s_waitcnt vmcnt(0)
	global_atomic_cmpswap_x2 v[6:7], v3, v[26:29], s[10:11] offset:24 glc
	s_waitcnt vmcnt(0)
	buffer_wbinvl1_vol
	v_cmp_ne_u64_e32 vcc, v[6:7], v[28:29]
	s_and_saveexec_b64 s[14:15], vcc
	s_cbranch_execz .LBB0_64
; %bb.61:                               ;   in Loop: Header=BB0_3 Depth=1
	s_mov_b64 s[16:17], 0
.LBB0_62:                               ;   Parent Loop BB0_3 Depth=1
                                        ; =>  This Inner Loop Header: Depth=2
	s_sleep 1
	global_load_dwordx2 v[26:27], v3, s[10:11] offset:40
	global_load_dwordx2 v[34:35], v3, s[10:11]
	v_mov_b32_e32 v29, v7
	v_mov_b32_e32 v28, v6
	s_waitcnt vmcnt(1)
	v_and_b32_e32 v0, v26, v28
	s_waitcnt vmcnt(0)
	v_mad_u64_u32 v[6:7], s[18:19], v0, 24, v[34:35]
	v_and_b32_e32 v2, v27, v29
	v_mov_b32_e32 v0, v7
	v_mad_u64_u32 v[26:27], s[18:19], v2, 24, v[0:1]
	v_mov_b32_e32 v7, v26
	global_load_dwordx2 v[26:27], v[6:7], off glc
	s_waitcnt vmcnt(0)
	global_atomic_cmpswap_x2 v[6:7], v3, v[26:29], s[10:11] offset:24 glc
	s_waitcnt vmcnt(0)
	buffer_wbinvl1_vol
	v_cmp_eq_u64_e32 vcc, v[6:7], v[28:29]
	s_or_b64 s[16:17], vcc, s[16:17]
	s_andn2_b64 exec, exec, s[16:17]
	s_cbranch_execnz .LBB0_62
; %bb.63:                               ;   in Loop: Header=BB0_3 Depth=1
	s_or_b64 exec, exec, s[16:17]
.LBB0_64:                               ;   in Loop: Header=BB0_3 Depth=1
	s_or_b64 exec, exec, s[14:15]
.LBB0_65:                               ;   in Loop: Header=BB0_3 Depth=1
	s_or_b64 exec, exec, s[12:13]
	s_waitcnt lgkmcnt(0)
	global_load_dwordx2 v[34:35], v3, s[10:11] offset:40
	global_load_dwordx4 v[26:29], v3, s[10:11]
	v_readfirstlane_b32 s13, v7
	v_readfirstlane_b32 s12, v6
	s_mov_b64 s[14:15], exec
	s_waitcnt vmcnt(1)
	v_readfirstlane_b32 s16, v34
	v_readfirstlane_b32 s17, v35
	s_and_b64 s[16:17], s[16:17], s[12:13]
	s_mul_i32 s18, s17, 24
	s_mul_hi_u32 s19, s16, 24
	s_mul_i32 s22, s16, 24
	s_add_i32 s18, s19, s18
	v_mov_b32_e32 v0, s18
	s_waitcnt vmcnt(0)
	v_add_co_u32_e32 v34, vcc, s22, v26
	v_addc_co_u32_e32 v35, vcc, v27, v0, vcc
	s_and_saveexec_b64 s[18:19], s[4:5]
	s_cbranch_execz .LBB0_67
; %bb.66:                               ;   in Loop: Header=BB0_3 Depth=1
	v_mov_b32_e32 v6, s14
	v_mov_b32_e32 v7, s15
	global_store_dwordx4 v[34:35], v[6:9], off offset:8
.LBB0_67:                               ;   in Loop: Header=BB0_3 Depth=1
	s_or_b64 exec, exec, s[18:19]
	s_lshl_b64 s[14:15], s[16:17], 12
	v_mov_b32_e32 v2, s15
	v_add_co_u32_e32 v0, vcc, s14, v28
	v_addc_co_u32_e32 v28, vcc, v29, v2, vcc
	v_cmp_gt_u64_e32 vcc, 57, v[4:5]
	v_and_b32_e32 v7, 0xffffff1f, v10
	v_cndmask_b32_e32 v2, 0, v38, vcc
	v_lshl_add_u32 v6, v32, 2, 28
	v_or_b32_e32 v2, v7, v2
	v_and_or_b32 v10, v6, s21, v2
	v_lshlrev_b32_e32 v29, 6, v39
	v_readfirstlane_b32 s14, v0
	v_readfirstlane_b32 s15, v28
	s_nop 4
	global_store_dwordx4 v29, v[10:13], s[14:15]
	global_store_dwordx4 v29, v[14:17], s[14:15] offset:16
	global_store_dwordx4 v29, v[18:21], s[14:15] offset:32
	;; [unrolled: 1-line block ×3, first 2 shown]
	s_and_saveexec_b64 s[14:15], s[4:5]
	s_cbranch_execz .LBB0_75
; %bb.68:                               ;   in Loop: Header=BB0_3 Depth=1
	global_load_dwordx2 v[14:15], v3, s[10:11] offset:32 glc
	global_load_dwordx2 v[6:7], v3, s[10:11] offset:40
	v_mov_b32_e32 v12, s12
	v_mov_b32_e32 v13, s13
	s_waitcnt vmcnt(0)
	v_readfirstlane_b32 s16, v6
	v_readfirstlane_b32 s17, v7
	s_and_b64 s[16:17], s[16:17], s[12:13]
	s_mul_i32 s17, s17, 24
	s_mul_hi_u32 s18, s16, 24
	s_mul_i32 s16, s16, 24
	s_add_i32 s17, s18, s17
	v_mov_b32_e32 v2, s17
	v_add_co_u32_e32 v6, vcc, s16, v26
	v_addc_co_u32_e32 v7, vcc, v27, v2, vcc
	global_store_dwordx2 v[6:7], v[14:15], off
	s_waitcnt vmcnt(0)
	global_atomic_cmpswap_x2 v[12:13], v3, v[12:15], s[10:11] offset:32 glc
	s_waitcnt vmcnt(0)
	v_cmp_ne_u64_e32 vcc, v[12:13], v[14:15]
	s_and_saveexec_b64 s[16:17], vcc
	s_cbranch_execz .LBB0_71
; %bb.69:                               ;   in Loop: Header=BB0_3 Depth=1
	s_mov_b64 s[18:19], 0
.LBB0_70:                               ;   Parent Loop BB0_3 Depth=1
                                        ; =>  This Inner Loop Header: Depth=2
	s_sleep 1
	global_store_dwordx2 v[6:7], v[12:13], off
	v_mov_b32_e32 v10, s12
	v_mov_b32_e32 v11, s13
	s_waitcnt vmcnt(0)
	global_atomic_cmpswap_x2 v[10:11], v3, v[10:13], s[10:11] offset:32 glc
	s_waitcnt vmcnt(0)
	v_cmp_eq_u64_e32 vcc, v[10:11], v[12:13]
	v_mov_b32_e32 v13, v11
	s_or_b64 s[18:19], vcc, s[18:19]
	v_mov_b32_e32 v12, v10
	s_andn2_b64 exec, exec, s[18:19]
	s_cbranch_execnz .LBB0_70
.LBB0_71:                               ;   in Loop: Header=BB0_3 Depth=1
	s_or_b64 exec, exec, s[16:17]
	global_load_dwordx2 v[6:7], v3, s[10:11] offset:16
	s_mov_b64 s[18:19], exec
	v_mbcnt_lo_u32_b32 v2, s18, 0
	v_mbcnt_hi_u32_b32 v2, s19, v2
	v_cmp_eq_u32_e32 vcc, 0, v2
	s_and_saveexec_b64 s[16:17], vcc
	s_cbranch_execz .LBB0_73
; %bb.72:                               ;   in Loop: Header=BB0_3 Depth=1
	s_bcnt1_i32_b64 s18, s[18:19]
	v_mov_b32_e32 v2, s18
	s_waitcnt vmcnt(0)
	global_atomic_add_x2 v[6:7], v[2:3], off offset:8
.LBB0_73:                               ;   in Loop: Header=BB0_3 Depth=1
	s_or_b64 exec, exec, s[16:17]
	s_waitcnt vmcnt(0)
	global_load_dwordx2 v[10:11], v[6:7], off offset:16
	s_waitcnt vmcnt(0)
	v_cmp_eq_u64_e32 vcc, 0, v[10:11]
	s_cbranch_vccnz .LBB0_75
; %bb.74:                               ;   in Loop: Header=BB0_3 Depth=1
	global_load_dword v2, v[6:7], off offset:24
	s_waitcnt vmcnt(0)
	v_readfirstlane_b32 s16, v2
	s_and_b32 m0, s16, 0xffffff
	global_store_dwordx2 v[10:11], v[2:3], off
	s_sendmsg sendmsg(MSG_INTERRUPT)
.LBB0_75:                               ;   in Loop: Header=BB0_3 Depth=1
	s_or_b64 exec, exec, s[14:15]
	v_add_co_u32_e32 v6, vcc, v0, v29
	v_addc_co_u32_e32 v7, vcc, 0, v28, vcc
	s_branch .LBB0_79
.LBB0_76:                               ;   in Loop: Header=BB0_79 Depth=2
	s_or_b64 exec, exec, s[14:15]
	v_readfirstlane_b32 s14, v0
	s_cmp_eq_u32 s14, 0
	s_cbranch_scc1 .LBB0_78
; %bb.77:                               ;   in Loop: Header=BB0_79 Depth=2
	s_sleep 1
	s_cbranch_execnz .LBB0_79
	s_branch .LBB0_81
.LBB0_78:                               ;   in Loop: Header=BB0_3 Depth=1
	s_branch .LBB0_81
.LBB0_79:                               ;   Parent Loop BB0_3 Depth=1
                                        ; =>  This Inner Loop Header: Depth=2
	v_mov_b32_e32 v0, 1
	s_and_saveexec_b64 s[14:15], s[4:5]
	s_cbranch_execz .LBB0_76
; %bb.80:                               ;   in Loop: Header=BB0_79 Depth=2
	global_load_dword v0, v[34:35], off offset:20 glc
	s_waitcnt vmcnt(0)
	buffer_wbinvl1_vol
	v_and_b32_e32 v0, 1, v0
	s_branch .LBB0_76
.LBB0_81:                               ;   in Loop: Header=BB0_3 Depth=1
	global_load_dwordx4 v[10:13], v[6:7], off
	s_and_saveexec_b64 s[14:15], s[4:5]
	s_cbranch_execz .LBB0_2
; %bb.82:                               ;   in Loop: Header=BB0_3 Depth=1
	global_load_dwordx2 v[6:7], v3, s[10:11] offset:40
	global_load_dwordx2 v[16:17], v3, s[10:11] offset:24 glc
	global_load_dwordx2 v[12:13], v3, s[10:11]
	s_waitcnt vmcnt(2)
	v_readfirstlane_b32 s16, v6
	v_readfirstlane_b32 s17, v7
	s_add_u32 s18, s16, 1
	s_addc_u32 s19, s17, 0
	s_add_u32 s4, s18, s12
	s_addc_u32 s5, s19, s13
	s_cmp_eq_u64 s[4:5], 0
	s_cselect_b32 s5, s19, s5
	s_cselect_b32 s4, s18, s4
	s_and_b64 s[12:13], s[4:5], s[16:17]
	s_mul_i32 s13, s13, 24
	s_mul_hi_u32 s16, s12, 24
	s_mul_i32 s12, s12, 24
	s_add_i32 s13, s16, s13
	v_mov_b32_e32 v0, s13
	s_waitcnt vmcnt(0)
	v_add_co_u32_e32 v6, vcc, s12, v12
	v_addc_co_u32_e32 v7, vcc, v13, v0, vcc
	v_mov_b32_e32 v14, s4
	global_store_dwordx2 v[6:7], v[16:17], off
	v_mov_b32_e32 v15, s5
	s_waitcnt vmcnt(0)
	global_atomic_cmpswap_x2 v[14:15], v3, v[14:17], s[10:11] offset:24 glc
	s_waitcnt vmcnt(0)
	v_cmp_ne_u64_e32 vcc, v[14:15], v[16:17]
	s_and_b64 exec, exec, vcc
	s_cbranch_execz .LBB0_2
; %bb.83:                               ;   in Loop: Header=BB0_3 Depth=1
	s_mov_b64 s[12:13], 0
.LBB0_84:                               ;   Parent Loop BB0_3 Depth=1
                                        ; =>  This Inner Loop Header: Depth=2
	s_sleep 1
	global_store_dwordx2 v[6:7], v[14:15], off
	v_mov_b32_e32 v12, s4
	v_mov_b32_e32 v13, s5
	s_waitcnt vmcnt(0)
	global_atomic_cmpswap_x2 v[12:13], v3, v[12:15], s[10:11] offset:24 glc
	s_waitcnt vmcnt(0)
	v_cmp_eq_u64_e32 vcc, v[12:13], v[14:15]
	v_mov_b32_e32 v15, v13
	s_or_b64 s[12:13], vcc, s[12:13]
	v_mov_b32_e32 v14, v12
	s_andn2_b64 exec, exec, s[12:13]
	s_cbranch_execnz .LBB0_84
	s_branch .LBB0_2
.LBB0_85:
	s_or_b64 exec, exec, s[6:7]
	s_branch .LBB0_113
.LBB0_86:
	s_load_dwordx2 s[6:7], s[8:9], 0x50
	v_mbcnt_hi_u32_b32 v3, -1, v37
	v_readfirstlane_b32 s4, v3
	v_mov_b32_e32 v8, 0
	v_mov_b32_e32 v9, 0
	v_cmp_eq_u32_e64 s[4:5], s4, v3
	s_and_saveexec_b64 s[8:9], s[4:5]
	s_cbranch_execz .LBB0_92
; %bb.87:
	v_mov_b32_e32 v0, 0
	s_waitcnt lgkmcnt(0)
	global_load_dwordx2 v[6:7], v0, s[6:7] offset:24 glc
	s_waitcnt vmcnt(0)
	buffer_wbinvl1_vol
	global_load_dwordx2 v[4:5], v0, s[6:7] offset:40
	global_load_dwordx2 v[8:9], v0, s[6:7]
	s_waitcnt vmcnt(1)
	v_and_b32_e32 v2, v4, v6
	v_and_b32_e32 v4, v5, v7
	v_mul_lo_u32 v4, v4, 24
	v_mul_hi_u32 v5, v2, 24
	v_mul_lo_u32 v2, v2, 24
	v_add_u32_e32 v5, v5, v4
	s_waitcnt vmcnt(0)
	v_add_co_u32_e32 v4, vcc, v8, v2
	v_addc_co_u32_e32 v5, vcc, v9, v5, vcc
	global_load_dwordx2 v[4:5], v[4:5], off glc
	s_waitcnt vmcnt(0)
	global_atomic_cmpswap_x2 v[8:9], v0, v[4:7], s[6:7] offset:24 glc
	s_waitcnt vmcnt(0)
	buffer_wbinvl1_vol
	v_cmp_ne_u64_e32 vcc, v[8:9], v[6:7]
	s_and_saveexec_b64 s[10:11], vcc
	s_cbranch_execz .LBB0_91
; %bb.88:
	s_mov_b64 s[12:13], 0
.LBB0_89:                               ; =>This Inner Loop Header: Depth=1
	s_sleep 1
	global_load_dwordx2 v[4:5], v0, s[6:7] offset:40
	global_load_dwordx2 v[10:11], v0, s[6:7]
	v_mov_b32_e32 v6, v8
	v_mov_b32_e32 v7, v9
	s_waitcnt vmcnt(1)
	v_and_b32_e32 v2, v4, v6
	s_waitcnt vmcnt(0)
	v_mad_u64_u32 v[8:9], s[14:15], v2, 24, v[10:11]
	v_and_b32_e32 v4, v5, v7
	v_mov_b32_e32 v2, v9
	v_mad_u64_u32 v[4:5], s[14:15], v4, 24, v[2:3]
	v_mov_b32_e32 v9, v4
	global_load_dwordx2 v[4:5], v[8:9], off glc
	s_waitcnt vmcnt(0)
	global_atomic_cmpswap_x2 v[8:9], v0, v[4:7], s[6:7] offset:24 glc
	s_waitcnt vmcnt(0)
	buffer_wbinvl1_vol
	v_cmp_eq_u64_e32 vcc, v[8:9], v[6:7]
	s_or_b64 s[12:13], vcc, s[12:13]
	s_andn2_b64 exec, exec, s[12:13]
	s_cbranch_execnz .LBB0_89
; %bb.90:
	s_or_b64 exec, exec, s[12:13]
.LBB0_91:
	s_or_b64 exec, exec, s[10:11]
.LBB0_92:
	s_or_b64 exec, exec, s[8:9]
	v_mov_b32_e32 v2, 0
	s_waitcnt lgkmcnt(0)
	global_load_dwordx2 v[10:11], v2, s[6:7] offset:40
	global_load_dwordx4 v[4:7], v2, s[6:7]
	v_readfirstlane_b32 s9, v9
	v_readfirstlane_b32 s8, v8
	s_mov_b64 s[10:11], exec
	s_waitcnt vmcnt(1)
	v_readfirstlane_b32 s12, v10
	v_readfirstlane_b32 s13, v11
	s_and_b64 s[12:13], s[12:13], s[8:9]
	s_mul_i32 s14, s13, 24
	s_mul_hi_u32 s15, s12, 24
	s_mul_i32 s16, s12, 24
	s_add_i32 s14, s15, s14
	v_mov_b32_e32 v0, s14
	s_waitcnt vmcnt(0)
	v_add_co_u32_e32 v8, vcc, s16, v4
	v_addc_co_u32_e32 v9, vcc, v5, v0, vcc
	s_and_saveexec_b64 s[14:15], s[4:5]
	s_cbranch_execz .LBB0_94
; %bb.93:
	v_mov_b32_e32 v10, s10
	v_mov_b32_e32 v11, s11
	;; [unrolled: 1-line block ×4, first 2 shown]
	global_store_dwordx4 v[8:9], v[10:13], off offset:8
.LBB0_94:
	s_or_b64 exec, exec, s[14:15]
	s_lshl_b64 s[10:11], s[12:13], 12
	v_mov_b32_e32 v0, s11
	v_add_co_u32_e32 v6, vcc, s10, v6
	v_addc_co_u32_e32 v7, vcc, v7, v0, vcc
	s_movk_i32 s10, 0xff1f
	v_and_or_b32 v0, v36, s10, 32
	v_lshlrev_b32_e32 v10, 6, v3
	s_mov_b32 s12, 0
	v_mov_b32_e32 v3, v2
	v_readfirstlane_b32 s10, v6
	v_readfirstlane_b32 s11, v7
	s_mov_b32 s13, s12
	s_mov_b32 s14, s12
	;; [unrolled: 1-line block ×3, first 2 shown]
	s_nop 1
	global_store_dwordx4 v10, v[0:3], s[10:11]
	s_nop 0
	v_mov_b32_e32 v0, s12
	v_mov_b32_e32 v1, s13
	;; [unrolled: 1-line block ×4, first 2 shown]
	global_store_dwordx4 v10, v[0:3], s[10:11] offset:16
	global_store_dwordx4 v10, v[0:3], s[10:11] offset:32
	;; [unrolled: 1-line block ×3, first 2 shown]
	s_and_saveexec_b64 s[10:11], s[4:5]
	s_cbranch_execz .LBB0_102
; %bb.95:
	v_mov_b32_e32 v6, 0
	global_load_dwordx2 v[12:13], v6, s[6:7] offset:32 glc
	global_load_dwordx2 v[0:1], v6, s[6:7] offset:40
	v_mov_b32_e32 v10, s8
	v_mov_b32_e32 v11, s9
	s_waitcnt vmcnt(0)
	v_and_b32_e32 v0, s8, v0
	v_and_b32_e32 v1, s9, v1
	v_mul_lo_u32 v1, v1, 24
	v_mul_hi_u32 v2, v0, 24
	v_mul_lo_u32 v0, v0, 24
	v_add_u32_e32 v1, v2, v1
	v_add_co_u32_e32 v4, vcc, v4, v0
	v_addc_co_u32_e32 v5, vcc, v5, v1, vcc
	global_store_dwordx2 v[4:5], v[12:13], off
	s_waitcnt vmcnt(0)
	global_atomic_cmpswap_x2 v[2:3], v6, v[10:13], s[6:7] offset:32 glc
	s_waitcnt vmcnt(0)
	v_cmp_ne_u64_e32 vcc, v[2:3], v[12:13]
	s_and_saveexec_b64 s[12:13], vcc
	s_cbranch_execz .LBB0_98
; %bb.96:
	s_mov_b64 s[14:15], 0
.LBB0_97:                               ; =>This Inner Loop Header: Depth=1
	s_sleep 1
	global_store_dwordx2 v[4:5], v[2:3], off
	v_mov_b32_e32 v0, s8
	v_mov_b32_e32 v1, s9
	s_waitcnt vmcnt(0)
	global_atomic_cmpswap_x2 v[0:1], v6, v[0:3], s[6:7] offset:32 glc
	s_waitcnt vmcnt(0)
	v_cmp_eq_u64_e32 vcc, v[0:1], v[2:3]
	v_mov_b32_e32 v3, v1
	s_or_b64 s[14:15], vcc, s[14:15]
	v_mov_b32_e32 v2, v0
	s_andn2_b64 exec, exec, s[14:15]
	s_cbranch_execnz .LBB0_97
.LBB0_98:
	s_or_b64 exec, exec, s[12:13]
	v_mov_b32_e32 v3, 0
	global_load_dwordx2 v[0:1], v3, s[6:7] offset:16
	s_mov_b64 s[12:13], exec
	v_mbcnt_lo_u32_b32 v2, s12, 0
	v_mbcnt_hi_u32_b32 v2, s13, v2
	v_cmp_eq_u32_e32 vcc, 0, v2
	s_and_saveexec_b64 s[14:15], vcc
	s_cbranch_execz .LBB0_100
; %bb.99:
	s_bcnt1_i32_b64 s12, s[12:13]
	v_mov_b32_e32 v2, s12
	s_waitcnt vmcnt(0)
	global_atomic_add_x2 v[0:1], v[2:3], off offset:8
.LBB0_100:
	s_or_b64 exec, exec, s[14:15]
	s_waitcnt vmcnt(0)
	global_load_dwordx2 v[2:3], v[0:1], off offset:16
	s_waitcnt vmcnt(0)
	v_cmp_eq_u64_e32 vcc, 0, v[2:3]
	s_cbranch_vccnz .LBB0_102
; %bb.101:
	global_load_dword v0, v[0:1], off offset:24
	v_mov_b32_e32 v1, 0
	s_waitcnt vmcnt(0)
	v_readfirstlane_b32 s12, v0
	s_and_b32 m0, s12, 0xffffff
	global_store_dwordx2 v[2:3], v[0:1], off
	s_sendmsg sendmsg(MSG_INTERRUPT)
.LBB0_102:
	s_or_b64 exec, exec, s[10:11]
	s_branch .LBB0_106
.LBB0_103:                              ;   in Loop: Header=BB0_106 Depth=1
	s_or_b64 exec, exec, s[10:11]
	v_readfirstlane_b32 s10, v0
	s_cmp_eq_u32 s10, 0
	s_cbranch_scc1 .LBB0_105
; %bb.104:                              ;   in Loop: Header=BB0_106 Depth=1
	s_sleep 1
	s_cbranch_execnz .LBB0_106
	s_branch .LBB0_108
.LBB0_105:
	s_branch .LBB0_108
.LBB0_106:                              ; =>This Inner Loop Header: Depth=1
	v_mov_b32_e32 v0, 1
	s_and_saveexec_b64 s[10:11], s[4:5]
	s_cbranch_execz .LBB0_103
; %bb.107:                              ;   in Loop: Header=BB0_106 Depth=1
	global_load_dword v0, v[8:9], off offset:20 glc
	s_waitcnt vmcnt(0)
	buffer_wbinvl1_vol
	v_and_b32_e32 v0, 1, v0
	s_branch .LBB0_103
.LBB0_108:
	s_and_saveexec_b64 s[10:11], s[4:5]
	s_cbranch_execz .LBB0_111
; %bb.109:
	v_mov_b32_e32 v6, 0
	global_load_dwordx2 v[0:1], v6, s[6:7] offset:40
	global_load_dwordx2 v[9:10], v6, s[6:7] offset:24 glc
	global_load_dwordx2 v[2:3], v6, s[6:7]
	s_waitcnt vmcnt(2)
	v_readfirstlane_b32 s12, v0
	v_readfirstlane_b32 s13, v1
	s_add_u32 s14, s12, 1
	s_addc_u32 s15, s13, 0
	s_add_u32 s4, s14, s8
	s_addc_u32 s5, s15, s9
	s_cmp_eq_u64 s[4:5], 0
	s_cselect_b32 s5, s15, s5
	s_cselect_b32 s4, s14, s4
	s_and_b64 s[8:9], s[4:5], s[12:13]
	s_mul_i32 s9, s9, 24
	s_mul_hi_u32 s12, s8, 24
	s_mul_i32 s8, s8, 24
	s_add_i32 s9, s12, s9
	v_mov_b32_e32 v0, s9
	s_waitcnt vmcnt(0)
	v_add_co_u32_e32 v4, vcc, s8, v2
	v_addc_co_u32_e32 v5, vcc, v3, v0, vcc
	v_mov_b32_e32 v7, s4
	global_store_dwordx2 v[4:5], v[9:10], off
	v_mov_b32_e32 v8, s5
	s_waitcnt vmcnt(0)
	global_atomic_cmpswap_x2 v[2:3], v6, v[7:10], s[6:7] offset:24 glc
	s_mov_b64 s[8:9], 0
	s_waitcnt vmcnt(0)
	v_cmp_ne_u64_e32 vcc, v[2:3], v[9:10]
	s_and_b64 exec, exec, vcc
	s_cbranch_execz .LBB0_111
.LBB0_110:                              ; =>This Inner Loop Header: Depth=1
	s_sleep 1
	global_store_dwordx2 v[4:5], v[2:3], off
	v_mov_b32_e32 v0, s4
	v_mov_b32_e32 v1, s5
	s_waitcnt vmcnt(0)
	global_atomic_cmpswap_x2 v[0:1], v6, v[0:3], s[6:7] offset:24 glc
	s_waitcnt vmcnt(0)
	v_cmp_eq_u64_e32 vcc, v[0:1], v[2:3]
	v_mov_b32_e32 v3, v1
	s_or_b64 s[8:9], vcc, s[8:9]
	v_mov_b32_e32 v2, v0
	s_andn2_b64 exec, exec, s[8:9]
	s_cbranch_execnz .LBB0_110
.LBB0_111:
	s_or_b64 exec, exec, s[10:11]
	s_waitcnt vmcnt(0) lgkmcnt(0)
	s_setpc_b64 s[30:31]
.LBB0_112:
	s_cbranch_execnz .LBB0_86
.LBB0_113:
	s_waitcnt vmcnt(0) lgkmcnt(0)
	s_setpc_b64 s[30:31]
.Lfunc_end0:
	.size	__ockl_fprintf_append_string_n, .Lfunc_end0-__ockl_fprintf_append_string_n
                                        ; -- End function
	.set .L__ockl_fprintf_append_string_n.num_vgpr, 40
	.set .L__ockl_fprintf_append_string_n.num_agpr, 0
	.set .L__ockl_fprintf_append_string_n.numbered_sgpr, 32
	.set .L__ockl_fprintf_append_string_n.num_named_barrier, 0
	.set .L__ockl_fprintf_append_string_n.private_seg_size, 0
	.set .L__ockl_fprintf_append_string_n.uses_vcc, 1
	.set .L__ockl_fprintf_append_string_n.uses_flat_scratch, 0
	.set .L__ockl_fprintf_append_string_n.has_dyn_sized_stack, 0
	.set .L__ockl_fprintf_append_string_n.has_recursion, 0
	.set .L__ockl_fprintf_append_string_n.has_indirect_call, 0
	.section	.AMDGPU.csdata,"",@progbits
; Function info:
; codeLenInByte = 3900
; TotalNumSgprs: 36
; NumVgprs: 40
; ScratchSize: 0
; MemoryBound: 0
	.text
	.p2align	2                               ; -- Begin function __assert_fail
	.type	__assert_fail,@function
__assert_fail:                          ; @__assert_fail
; %bb.0:
	s_waitcnt vmcnt(0) expcnt(0) lgkmcnt(0)
	s_mov_b32 s25, s33
	s_mov_b32 s33, s32
	s_or_saveexec_b64 s[4:5], -1
	buffer_store_dword v40, off, s[0:3], s33 offset:48 ; 4-byte Folded Spill
	s_mov_b64 exec, s[4:5]
	v_writelane_b32 v40, s30, 0
	s_addk_i32 s32, 0x1000
	v_writelane_b32 v40, s31, 1
	v_mov_b32_e32 v8, 0
	s_getpc_b64 s[4:5]
	s_add_u32 s4, s4, __const.__assert_fail.fmt@rel32@lo+35
	s_addc_u32 s5, s5, __const.__assert_fail.fmt@rel32@hi+43
	v_mov_b32_e32 v5, v1
	v_mov_b32_e32 v4, v0
	global_load_dwordx4 v[0:3], v8, s[4:5]
	s_getpc_b64 s[16:17]
	s_add_u32 s16, s16, __const.__assert_fail.fmt@rel32@lo+4
	s_addc_u32 s17, s17, __const.__assert_fail.fmt@rel32@hi+12
	s_getpc_b64 s[18:19]
	s_add_u32 s18, s18, __const.__assert_fail.fmt@rel32@lo+20
	s_addc_u32 s19, s19, __const.__assert_fail.fmt@rel32@hi+28
	v_mbcnt_lo_u32_b32 v9, -1, 0
	s_load_dwordx4 s[4:7], s[16:17], 0x0
	s_load_dwordx4 s[12:15], s[18:19], 0x0
	s_load_dwordx2 s[10:11], s[8:9], 0x50
	v_mbcnt_hi_u32_b32 v34, -1, v9
	v_mov_b32_e32 v6, 0
	v_readfirstlane_b32 s16, v34
	v_mov_b32_e32 v7, 0
	s_waitcnt lgkmcnt(0)
	v_mov_b32_e32 v9, s7
	v_mov_b32_e32 v11, s5
	;; [unrolled: 1-line block ×3, first 2 shown]
	v_cmp_eq_u32_e64 s[4:5], s16, v34
	v_mov_b32_e32 v10, s6
	v_mov_b32_e32 v13, s15
	;; [unrolled: 1-line block ×5, first 2 shown]
	buffer_store_dword v9, off, s[0:3], s33 offset:12
	buffer_store_dword v10, off, s[0:3], s33 offset:8
	buffer_store_dword v11, off, s[0:3], s33 offset:4
	buffer_store_dword v12, off, s[0:3], s33
	buffer_store_dword v13, off, s[0:3], s33 offset:28
	buffer_store_dword v14, off, s[0:3], s33 offset:24
	;; [unrolled: 1-line block ×4, first 2 shown]
	s_waitcnt vmcnt(8)
	buffer_store_dword v3, off, s[0:3], s33 offset:43
	buffer_store_dword v2, off, s[0:3], s33 offset:39
	;; [unrolled: 1-line block ×4, first 2 shown]
	s_and_saveexec_b64 s[6:7], s[4:5]
	s_cbranch_execz .LBB1_6
; %bb.1:
	global_load_dwordx2 v[2:3], v8, s[10:11] offset:24 glc
	s_waitcnt vmcnt(0)
	buffer_wbinvl1_vol
	global_load_dwordx2 v[0:1], v8, s[10:11] offset:40
	global_load_dwordx2 v[6:7], v8, s[10:11]
	s_waitcnt vmcnt(1)
	v_and_b32_e32 v0, v0, v2
	v_and_b32_e32 v1, v1, v3
	v_mul_lo_u32 v1, v1, 24
	v_mul_hi_u32 v9, v0, 24
	v_mul_lo_u32 v0, v0, 24
	v_add_u32_e32 v1, v9, v1
	s_waitcnt vmcnt(0)
	v_add_co_u32_e32 v0, vcc, v6, v0
	v_addc_co_u32_e32 v1, vcc, v7, v1, vcc
	global_load_dwordx2 v[0:1], v[0:1], off glc
	s_waitcnt vmcnt(0)
	global_atomic_cmpswap_x2 v[6:7], v8, v[0:3], s[10:11] offset:24 glc
	s_waitcnt vmcnt(0)
	buffer_wbinvl1_vol
	v_cmp_ne_u64_e32 vcc, v[6:7], v[2:3]
	s_and_saveexec_b64 s[12:13], vcc
	s_cbranch_execz .LBB1_5
; %bb.2:
	s_mov_b64 s[14:15], 0
	v_mov_b32_e32 v0, 0
.LBB1_3:                                ; =>This Inner Loop Header: Depth=1
	s_sleep 1
	global_load_dwordx2 v[1:2], v0, s[10:11] offset:40
	global_load_dwordx2 v[9:10], v0, s[10:11]
	v_mov_b32_e32 v12, v7
	v_mov_b32_e32 v11, v6
	s_waitcnt vmcnt(1)
	v_and_b32_e32 v1, v1, v11
	s_waitcnt vmcnt(0)
	v_mad_u64_u32 v[6:7], s[16:17], v1, 24, v[9:10]
	v_and_b32_e32 v2, v2, v12
	v_mov_b32_e32 v1, v7
	v_mad_u64_u32 v[1:2], s[16:17], v2, 24, v[1:2]
	v_mov_b32_e32 v7, v1
	global_load_dwordx2 v[9:10], v[6:7], off glc
	s_waitcnt vmcnt(0)
	global_atomic_cmpswap_x2 v[6:7], v0, v[9:12], s[10:11] offset:24 glc
	s_waitcnt vmcnt(0)
	buffer_wbinvl1_vol
	v_cmp_eq_u64_e32 vcc, v[6:7], v[11:12]
	s_or_b64 s[14:15], vcc, s[14:15]
	s_andn2_b64 exec, exec, s[14:15]
	s_cbranch_execnz .LBB1_3
; %bb.4:
	s_or_b64 exec, exec, s[14:15]
.LBB1_5:
	s_or_b64 exec, exec, s[12:13]
.LBB1_6:
	s_or_b64 exec, exec, s[6:7]
	global_load_dwordx2 v[9:10], v8, s[10:11] offset:40
	global_load_dwordx4 v[0:3], v8, s[10:11]
	v_readfirstlane_b32 s7, v7
	v_readfirstlane_b32 s6, v6
	s_mov_b64 s[12:13], exec
	s_waitcnt vmcnt(1)
	v_readfirstlane_b32 s14, v9
	v_readfirstlane_b32 s15, v10
	s_and_b64 s[14:15], s[14:15], s[6:7]
	s_mul_i32 s16, s15, 24
	s_mul_hi_u32 s17, s14, 24
	s_mul_i32 s18, s14, 24
	s_add_i32 s16, s17, s16
	v_mov_b32_e32 v6, s16
	s_waitcnt vmcnt(0)
	v_add_co_u32_e32 v10, vcc, s18, v0
	v_addc_co_u32_e32 v11, vcc, v1, v6, vcc
	s_and_saveexec_b64 s[16:17], s[4:5]
	s_cbranch_execz .LBB1_8
; %bb.7:
	v_mov_b32_e32 v6, s12
	v_mov_b32_e32 v7, s13
	;; [unrolled: 1-line block ×4, first 2 shown]
	global_store_dwordx4 v[10:11], v[6:9], off offset:8
.LBB1_8:
	s_or_b64 exec, exec, s[16:17]
	s_lshl_b64 s[12:13], s[14:15], 12
	v_mov_b32_e32 v6, s13
	v_add_co_u32_e32 v2, vcc, s12, v2
	s_mov_b32 s12, 0
	v_addc_co_u32_e32 v3, vcc, v3, v6, vcc
	v_lshlrev_b32_e32 v35, 6, v34
	s_mov_b32 s15, s12
	v_mov_b32_e32 v7, 0
	v_add_co_u32_e32 v12, vcc, v2, v35
	s_mov_b32 s13, s12
	s_mov_b32 s14, s12
	v_mov_b32_e32 v17, s15
	v_addc_co_u32_e32 v13, vcc, 0, v3, vcc
	v_mov_b32_e32 v6, 33
	v_mov_b32_e32 v8, 1
	;; [unrolled: 1-line block ×3, first 2 shown]
	v_readfirstlane_b32 s16, v2
	v_readfirstlane_b32 s17, v3
	v_mov_b32_e32 v16, s14
	v_mov_b32_e32 v15, s13
	;; [unrolled: 1-line block ×3, first 2 shown]
	s_nop 1
	global_store_dwordx4 v35, v[6:9], s[16:17]
	global_store_dwordx4 v35, v[14:17], s[16:17] offset:16
	global_store_dwordx4 v35, v[14:17], s[16:17] offset:32
	;; [unrolled: 1-line block ×3, first 2 shown]
	s_and_saveexec_b64 s[12:13], s[4:5]
	s_cbranch_execz .LBB1_16
; %bb.9:
	global_load_dwordx2 v[16:17], v7, s[10:11] offset:32 glc
	global_load_dwordx2 v[2:3], v7, s[10:11] offset:40
	v_mov_b32_e32 v14, s6
	v_mov_b32_e32 v15, s7
	s_waitcnt vmcnt(0)
	v_and_b32_e32 v2, s6, v2
	v_and_b32_e32 v3, s7, v3
	v_mul_lo_u32 v3, v3, 24
	v_mul_hi_u32 v6, v2, 24
	v_mul_lo_u32 v2, v2, 24
	v_add_u32_e32 v3, v6, v3
	v_add_co_u32_e32 v8, vcc, v0, v2
	v_addc_co_u32_e32 v9, vcc, v1, v3, vcc
	global_store_dwordx2 v[8:9], v[16:17], off
	s_waitcnt vmcnt(0)
	global_atomic_cmpswap_x2 v[2:3], v7, v[14:17], s[10:11] offset:32 glc
	s_waitcnt vmcnt(0)
	v_cmp_ne_u64_e32 vcc, v[2:3], v[16:17]
	s_and_saveexec_b64 s[14:15], vcc
	s_cbranch_execz .LBB1_12
; %bb.10:
	s_mov_b64 s[16:17], 0
	v_mov_b32_e32 v6, 0
.LBB1_11:                               ; =>This Inner Loop Header: Depth=1
	s_sleep 1
	global_store_dwordx2 v[8:9], v[2:3], off
	v_mov_b32_e32 v0, s6
	v_mov_b32_e32 v1, s7
	s_waitcnt vmcnt(0)
	global_atomic_cmpswap_x2 v[0:1], v6, v[0:3], s[10:11] offset:32 glc
	s_waitcnt vmcnt(0)
	v_cmp_eq_u64_e32 vcc, v[0:1], v[2:3]
	v_mov_b32_e32 v3, v1
	s_or_b64 s[16:17], vcc, s[16:17]
	v_mov_b32_e32 v2, v0
	s_andn2_b64 exec, exec, s[16:17]
	s_cbranch_execnz .LBB1_11
.LBB1_12:
	s_or_b64 exec, exec, s[14:15]
	v_mov_b32_e32 v3, 0
	global_load_dwordx2 v[0:1], v3, s[10:11] offset:16
	s_mov_b64 s[14:15], exec
	v_mbcnt_lo_u32_b32 v2, s14, 0
	v_mbcnt_hi_u32_b32 v2, s15, v2
	v_cmp_eq_u32_e32 vcc, 0, v2
	s_and_saveexec_b64 s[16:17], vcc
	s_cbranch_execz .LBB1_14
; %bb.13:
	s_bcnt1_i32_b64 s14, s[14:15]
	v_mov_b32_e32 v2, s14
	s_waitcnt vmcnt(0)
	global_atomic_add_x2 v[0:1], v[2:3], off offset:8
.LBB1_14:
	s_or_b64 exec, exec, s[16:17]
	s_waitcnt vmcnt(0)
	global_load_dwordx2 v[2:3], v[0:1], off offset:16
	s_waitcnt vmcnt(0)
	v_cmp_eq_u64_e32 vcc, 0, v[2:3]
	s_cbranch_vccnz .LBB1_16
; %bb.15:
	global_load_dword v0, v[0:1], off offset:24
	v_mov_b32_e32 v1, 0
	s_waitcnt vmcnt(0)
	v_readfirstlane_b32 s14, v0
	s_and_b32 m0, s14, 0xffffff
	global_store_dwordx2 v[2:3], v[0:1], off
	s_sendmsg sendmsg(MSG_INTERRUPT)
.LBB1_16:
	s_or_b64 exec, exec, s[12:13]
	s_branch .LBB1_20
.LBB1_17:                               ;   in Loop: Header=BB1_20 Depth=1
	s_or_b64 exec, exec, s[12:13]
	v_readfirstlane_b32 s12, v0
	s_cmp_eq_u32 s12, 0
	s_cbranch_scc1 .LBB1_19
; %bb.18:                               ;   in Loop: Header=BB1_20 Depth=1
	s_sleep 1
	s_cbranch_execnz .LBB1_20
	s_branch .LBB1_22
.LBB1_19:
	s_branch .LBB1_22
.LBB1_20:                               ; =>This Inner Loop Header: Depth=1
	v_mov_b32_e32 v0, 1
	s_and_saveexec_b64 s[12:13], s[4:5]
	s_cbranch_execz .LBB1_17
; %bb.21:                               ;   in Loop: Header=BB1_20 Depth=1
	global_load_dword v0, v[10:11], off offset:20 glc
	s_waitcnt vmcnt(0)
	buffer_wbinvl1_vol
	v_and_b32_e32 v0, 1, v0
	s_branch .LBB1_17
.LBB1_22:
	global_load_dwordx2 v[6:7], v[12:13], off
	s_and_saveexec_b64 s[12:13], s[4:5]
	s_cbranch_execz .LBB1_25
; %bb.23:
	v_mov_b32_e32 v10, 0
	global_load_dwordx2 v[0:1], v10, s[10:11] offset:40
	global_load_dwordx2 v[13:14], v10, s[10:11] offset:24 glc
	global_load_dwordx2 v[2:3], v10, s[10:11]
	s_waitcnt vmcnt(2)
	v_readfirstlane_b32 s14, v0
	v_readfirstlane_b32 s15, v1
	s_add_u32 s16, s14, 1
	s_addc_u32 s17, s15, 0
	s_add_u32 s4, s16, s6
	s_addc_u32 s5, s17, s7
	s_cmp_eq_u64 s[4:5], 0
	s_cselect_b32 s5, s17, s5
	s_cselect_b32 s4, s16, s4
	s_and_b64 s[6:7], s[4:5], s[14:15]
	s_mul_i32 s7, s7, 24
	s_mul_hi_u32 s14, s6, 24
	s_mul_i32 s6, s6, 24
	s_add_i32 s7, s14, s7
	v_mov_b32_e32 v0, s7
	s_waitcnt vmcnt(0)
	v_add_co_u32_e32 v8, vcc, s6, v2
	v_addc_co_u32_e32 v9, vcc, v3, v0, vcc
	v_mov_b32_e32 v11, s4
	global_store_dwordx2 v[8:9], v[13:14], off
	v_mov_b32_e32 v12, s5
	s_waitcnt vmcnt(0)
	global_atomic_cmpswap_x2 v[2:3], v10, v[11:14], s[10:11] offset:24 glc
	s_mov_b64 s[6:7], 0
	s_waitcnt vmcnt(0)
	v_cmp_ne_u64_e32 vcc, v[2:3], v[13:14]
	s_and_b64 exec, exec, vcc
	s_cbranch_execz .LBB1_25
.LBB1_24:                               ; =>This Inner Loop Header: Depth=1
	s_sleep 1
	global_store_dwordx2 v[8:9], v[2:3], off
	v_mov_b32_e32 v0, s4
	v_mov_b32_e32 v1, s5
	s_waitcnt vmcnt(0)
	global_atomic_cmpswap_x2 v[0:1], v10, v[0:3], s[10:11] offset:24 glc
	s_waitcnt vmcnt(0)
	v_cmp_eq_u64_e32 vcc, v[0:1], v[2:3]
	v_mov_b32_e32 v3, v1
	s_or_b64 s[6:7], vcc, s[6:7]
	v_mov_b32_e32 v2, v0
	s_andn2_b64 exec, exec, s[6:7]
	s_cbranch_execnz .LBB1_24
.LBB1_25:
	s_or_b64 exec, exec, s[12:13]
	s_lshr_b32 s6, s33, 6
	s_mov_b64 s[4:5], 0
.LBB1_26:                               ; =>This Inner Loop Header: Depth=1
	v_mov_b32_e32 v0, s6
	buffer_load_ubyte v1, v0, s[0:3], 0 offen
	s_add_i32 s6, s6, 1
	v_mov_b32_e32 v0, s6
	s_waitcnt vmcnt(0)
	v_cmp_eq_u16_e32 vcc, 0, v1
	s_or_b64 s[4:5], vcc, s[4:5]
	s_andn2_b64 exec, exec, s[4:5]
	s_cbranch_execnz .LBB1_26
; %bb.27:
	s_or_b64 exec, exec, s[4:5]
	s_lshr_b32 s4, s33, 6
	s_cmp_lg_u32 s4, -1
	s_cbranch_scc0 .LBB1_112
; %bb.28:
	v_lshrrev_b32_e64 v1, 6, s33
	v_subrev_u32_e32 v28, v1, v0
	v_ashrrev_i32_e32 v29, 31, v28
	v_and_b32_e32 v36, 2, v6
	v_mov_b32_e32 v31, 0
	v_and_b32_e32 v0, -3, v6
	v_mov_b32_e32 v1, v7
	s_mov_b64 s[12:13], 0
	v_lshrrev_b32_e64 v37, 6, s33
	s_mov_b32 s20, 0
	s_movk_i32 s21, 0x1e0
	v_mov_b32_e32 v10, 2
	v_mov_b32_e32 v11, 1
	s_branch .LBB1_30
.LBB1_29:                               ;   in Loop: Header=BB1_30 Depth=1
	s_or_b64 exec, exec, s[6:7]
	v_sub_co_u32_e32 v28, vcc, v28, v38
	v_subb_co_u32_e32 v29, vcc, v29, v39, vcc
	v_cmp_eq_u64_e32 vcc, 0, v[28:29]
	v_add_u32_e32 v37, v37, v38
	s_or_b64 s[12:13], vcc, s[12:13]
	s_andn2_b64 exec, exec, s[12:13]
	s_cbranch_execz .LBB1_113
.LBB1_30:                               ; =>This Loop Header: Depth=1
                                        ;     Child Loop BB1_33 Depth 2
                                        ;     Child Loop BB1_41 Depth 2
	;; [unrolled: 1-line block ×11, first 2 shown]
	v_cmp_gt_u64_e32 vcc, 56, v[28:29]
	v_cmp_gt_u64_e64 s[4:5], 8, v[28:29]
	v_cndmask_b32_e32 v38, 56, v28, vcc
	v_add_u32_e32 v9, 8, v37
	s_and_saveexec_b64 s[6:7], s[4:5]
	s_xor_b64 s[6:7], exec, s[6:7]
	s_cbranch_execz .LBB1_36
; %bb.31:                               ;   in Loop: Header=BB1_30 Depth=1
	v_mov_b32_e32 v2, 0
	v_cmp_ne_u64_e64 s[4:5], 0, v[28:29]
	v_mov_b32_e32 v3, 0
	s_and_saveexec_b64 s[14:15], s[4:5]
	s_cbranch_execz .LBB1_35
; %bb.32:                               ;   in Loop: Header=BB1_30 Depth=1
	v_mov_b32_e32 v2, 0
	s_mov_b32 s22, 0
	s_mov_b64 s[16:17], 0
	v_mov_b32_e32 v3, 0
	s_mov_b64 s[18:19], 0
.LBB1_33:                               ;   Parent Loop BB1_30 Depth=1
                                        ; =>  This Inner Loop Header: Depth=2
	v_add_u32_e32 v8, s22, v37
	buffer_load_ubyte v8, v8, s[0:3], 0 offen
	v_mov_b32_e32 v9, s20
	s_add_i32 s22, s22, 1
	v_cmp_eq_u32_e64 s[4:5], s22, v38
	s_waitcnt vmcnt(0)
	v_and_b32_e32 v8, 0xffff, v8
	v_lshlrev_b64 v[8:9], s18, v[8:9]
	s_add_u32 s18, s18, 8
	s_addc_u32 s19, s19, 0
	v_or_b32_e32 v3, v9, v3
	s_or_b64 s[16:17], s[4:5], s[16:17]
	v_or_b32_e32 v2, v8, v2
	s_andn2_b64 exec, exec, s[16:17]
	s_cbranch_execnz .LBB1_33
; %bb.34:                               ;   in Loop: Header=BB1_30 Depth=1
	s_or_b64 exec, exec, s[16:17]
.LBB1_35:                               ;   in Loop: Header=BB1_30 Depth=1
	s_or_b64 exec, exec, s[14:15]
	v_mov_b32_e32 v9, v37
.LBB1_36:                               ;   in Loop: Header=BB1_30 Depth=1
	s_or_saveexec_b64 s[4:5], s[6:7]
	v_mov_b32_e32 v14, 0
	s_xor_b64 exec, exec, s[4:5]
	s_cbranch_execz .LBB1_38
; %bb.37:                               ;   in Loop: Header=BB1_30 Depth=1
	buffer_load_dword v2, v37, s[0:3], 0 offen
	buffer_load_dword v3, v37, s[0:3], 0 offen offset:4
	v_add_u32_e32 v14, -8, v38
.LBB1_38:                               ;   in Loop: Header=BB1_30 Depth=1
	s_or_b64 exec, exec, s[4:5]
	v_cmp_gt_u32_e64 s[4:5], 8, v14
	v_add_u32_e32 v8, 8, v9
                                        ; implicit-def: $vgpr12_vgpr13
	s_and_saveexec_b64 s[6:7], s[4:5]
	s_xor_b64 s[6:7], exec, s[6:7]
	s_cbranch_execz .LBB1_44
; %bb.39:                               ;   in Loop: Header=BB1_30 Depth=1
	v_mov_b32_e32 v12, 0
	v_mov_b32_e32 v13, 0
	v_cmp_ne_u32_e64 s[4:5], 0, v14
	s_and_saveexec_b64 s[14:15], s[4:5]
	s_cbranch_execz .LBB1_43
; %bb.40:                               ;   in Loop: Header=BB1_30 Depth=1
	v_mov_b32_e32 v12, 0
	s_mov_b32 s22, 0
	s_mov_b64 s[16:17], 0
	v_mov_b32_e32 v13, 0
	s_mov_b64 s[18:19], 0
.LBB1_41:                               ;   Parent Loop BB1_30 Depth=1
                                        ; =>  This Inner Loop Header: Depth=2
	v_add_u32_e32 v8, s22, v9
	buffer_load_ubyte v8, v8, s[0:3], 0 offen
	v_mov_b32_e32 v16, s20
	s_add_i32 s22, s22, 1
	v_cmp_eq_u32_e64 s[4:5], s22, v14
	s_waitcnt vmcnt(0)
	v_and_b32_e32 v15, 0xffff, v8
	v_lshlrev_b64 v[15:16], s18, v[15:16]
	s_add_u32 s18, s18, 8
	s_addc_u32 s19, s19, 0
	v_or_b32_e32 v13, v16, v13
	s_or_b64 s[16:17], s[4:5], s[16:17]
	v_or_b32_e32 v12, v15, v12
	s_andn2_b64 exec, exec, s[16:17]
	s_cbranch_execnz .LBB1_41
; %bb.42:                               ;   in Loop: Header=BB1_30 Depth=1
	s_or_b64 exec, exec, s[16:17]
.LBB1_43:                               ;   in Loop: Header=BB1_30 Depth=1
	s_or_b64 exec, exec, s[14:15]
	v_mov_b32_e32 v8, v9
                                        ; implicit-def: $vgpr14
.LBB1_44:                               ;   in Loop: Header=BB1_30 Depth=1
	s_or_saveexec_b64 s[4:5], s[6:7]
	v_mov_b32_e32 v16, 0
	s_xor_b64 exec, exec, s[4:5]
	s_cbranch_execz .LBB1_46
; %bb.45:                               ;   in Loop: Header=BB1_30 Depth=1
	buffer_load_dword v12, v9, s[0:3], 0 offen
	buffer_load_dword v13, v9, s[0:3], 0 offen offset:4
	v_add_u32_e32 v16, -8, v14
.LBB1_46:                               ;   in Loop: Header=BB1_30 Depth=1
	s_or_b64 exec, exec, s[4:5]
	v_cmp_gt_u32_e64 s[4:5], 8, v16
	v_add_u32_e32 v9, 8, v8
	s_and_saveexec_b64 s[6:7], s[4:5]
	s_xor_b64 s[6:7], exec, s[6:7]
	s_cbranch_execz .LBB1_52
; %bb.47:                               ;   in Loop: Header=BB1_30 Depth=1
	v_mov_b32_e32 v14, 0
	v_mov_b32_e32 v15, 0
	v_cmp_ne_u32_e64 s[4:5], 0, v16
	s_and_saveexec_b64 s[14:15], s[4:5]
	s_cbranch_execz .LBB1_51
; %bb.48:                               ;   in Loop: Header=BB1_30 Depth=1
	v_mov_b32_e32 v14, 0
	s_mov_b32 s22, 0
	s_mov_b64 s[16:17], 0
	v_mov_b32_e32 v15, 0
	s_mov_b64 s[18:19], 0
.LBB1_49:                               ;   Parent Loop BB1_30 Depth=1
                                        ; =>  This Inner Loop Header: Depth=2
	v_add_u32_e32 v9, s22, v8
	buffer_load_ubyte v9, v9, s[0:3], 0 offen
	v_mov_b32_e32 v18, s20
	s_add_i32 s22, s22, 1
	v_cmp_eq_u32_e64 s[4:5], s22, v16
	s_waitcnt vmcnt(0)
	v_and_b32_e32 v17, 0xffff, v9
	v_lshlrev_b64 v[17:18], s18, v[17:18]
	s_add_u32 s18, s18, 8
	s_addc_u32 s19, s19, 0
	v_or_b32_e32 v15, v18, v15
	s_or_b64 s[16:17], s[4:5], s[16:17]
	v_or_b32_e32 v14, v17, v14
	s_andn2_b64 exec, exec, s[16:17]
	s_cbranch_execnz .LBB1_49
; %bb.50:                               ;   in Loop: Header=BB1_30 Depth=1
	s_or_b64 exec, exec, s[16:17]
.LBB1_51:                               ;   in Loop: Header=BB1_30 Depth=1
	s_or_b64 exec, exec, s[14:15]
	v_mov_b32_e32 v9, v8
                                        ; implicit-def: $vgpr16
.LBB1_52:                               ;   in Loop: Header=BB1_30 Depth=1
	s_or_saveexec_b64 s[4:5], s[6:7]
	v_mov_b32_e32 v18, 0
	s_xor_b64 exec, exec, s[4:5]
	s_cbranch_execz .LBB1_54
; %bb.53:                               ;   in Loop: Header=BB1_30 Depth=1
	buffer_load_dword v14, v8, s[0:3], 0 offen
	buffer_load_dword v15, v8, s[0:3], 0 offen offset:4
	v_add_u32_e32 v18, -8, v16
.LBB1_54:                               ;   in Loop: Header=BB1_30 Depth=1
	s_or_b64 exec, exec, s[4:5]
	v_cmp_gt_u32_e64 s[4:5], 8, v18
	v_add_u32_e32 v8, 8, v9
                                        ; implicit-def: $vgpr16_vgpr17
	s_and_saveexec_b64 s[6:7], s[4:5]
	s_xor_b64 s[6:7], exec, s[6:7]
	s_cbranch_execz .LBB1_60
; %bb.55:                               ;   in Loop: Header=BB1_30 Depth=1
	v_mov_b32_e32 v16, 0
	v_mov_b32_e32 v17, 0
	v_cmp_ne_u32_e64 s[4:5], 0, v18
	s_and_saveexec_b64 s[14:15], s[4:5]
	s_cbranch_execz .LBB1_59
; %bb.56:                               ;   in Loop: Header=BB1_30 Depth=1
	v_mov_b32_e32 v16, 0
	s_mov_b32 s22, 0
	s_mov_b64 s[16:17], 0
	v_mov_b32_e32 v17, 0
	s_mov_b64 s[18:19], 0
.LBB1_57:                               ;   Parent Loop BB1_30 Depth=1
                                        ; =>  This Inner Loop Header: Depth=2
	v_add_u32_e32 v8, s22, v9
	buffer_load_ubyte v8, v8, s[0:3], 0 offen
	v_mov_b32_e32 v20, s20
	s_add_i32 s22, s22, 1
	v_cmp_eq_u32_e64 s[4:5], s22, v18
	s_waitcnt vmcnt(0)
	v_and_b32_e32 v19, 0xffff, v8
	v_lshlrev_b64 v[19:20], s18, v[19:20]
	s_add_u32 s18, s18, 8
	s_addc_u32 s19, s19, 0
	v_or_b32_e32 v17, v20, v17
	s_or_b64 s[16:17], s[4:5], s[16:17]
	v_or_b32_e32 v16, v19, v16
	s_andn2_b64 exec, exec, s[16:17]
	s_cbranch_execnz .LBB1_57
; %bb.58:                               ;   in Loop: Header=BB1_30 Depth=1
	s_or_b64 exec, exec, s[16:17]
.LBB1_59:                               ;   in Loop: Header=BB1_30 Depth=1
	s_or_b64 exec, exec, s[14:15]
	v_mov_b32_e32 v8, v9
                                        ; implicit-def: $vgpr18
.LBB1_60:                               ;   in Loop: Header=BB1_30 Depth=1
	s_or_saveexec_b64 s[4:5], s[6:7]
	v_mov_b32_e32 v20, 0
	s_xor_b64 exec, exec, s[4:5]
	s_cbranch_execz .LBB1_62
; %bb.61:                               ;   in Loop: Header=BB1_30 Depth=1
	buffer_load_dword v16, v9, s[0:3], 0 offen
	buffer_load_dword v17, v9, s[0:3], 0 offen offset:4
	v_add_u32_e32 v20, -8, v18
.LBB1_62:                               ;   in Loop: Header=BB1_30 Depth=1
	s_or_b64 exec, exec, s[4:5]
	v_cmp_gt_u32_e64 s[4:5], 8, v20
	v_add_u32_e32 v9, 8, v8
	s_and_saveexec_b64 s[6:7], s[4:5]
	s_xor_b64 s[6:7], exec, s[6:7]
	s_cbranch_execz .LBB1_68
; %bb.63:                               ;   in Loop: Header=BB1_30 Depth=1
	v_mov_b32_e32 v18, 0
	v_mov_b32_e32 v19, 0
	v_cmp_ne_u32_e64 s[4:5], 0, v20
	s_and_saveexec_b64 s[14:15], s[4:5]
	s_cbranch_execz .LBB1_67
; %bb.64:                               ;   in Loop: Header=BB1_30 Depth=1
	v_mov_b32_e32 v18, 0
	s_mov_b32 s22, 0
	s_mov_b64 s[16:17], 0
	v_mov_b32_e32 v19, 0
	s_mov_b64 s[18:19], 0
.LBB1_65:                               ;   Parent Loop BB1_30 Depth=1
                                        ; =>  This Inner Loop Header: Depth=2
	v_add_u32_e32 v9, s22, v8
	buffer_load_ubyte v9, v9, s[0:3], 0 offen
	v_mov_b32_e32 v22, s20
	s_add_i32 s22, s22, 1
	v_cmp_eq_u32_e64 s[4:5], s22, v20
	s_waitcnt vmcnt(0)
	v_and_b32_e32 v21, 0xffff, v9
	v_lshlrev_b64 v[21:22], s18, v[21:22]
	s_add_u32 s18, s18, 8
	s_addc_u32 s19, s19, 0
	v_or_b32_e32 v19, v22, v19
	s_or_b64 s[16:17], s[4:5], s[16:17]
	v_or_b32_e32 v18, v21, v18
	s_andn2_b64 exec, exec, s[16:17]
	s_cbranch_execnz .LBB1_65
; %bb.66:                               ;   in Loop: Header=BB1_30 Depth=1
	s_or_b64 exec, exec, s[16:17]
.LBB1_67:                               ;   in Loop: Header=BB1_30 Depth=1
	s_or_b64 exec, exec, s[14:15]
	v_mov_b32_e32 v9, v8
                                        ; implicit-def: $vgpr20
.LBB1_68:                               ;   in Loop: Header=BB1_30 Depth=1
	s_or_saveexec_b64 s[4:5], s[6:7]
	v_mov_b32_e32 v22, 0
	s_xor_b64 exec, exec, s[4:5]
	s_cbranch_execz .LBB1_70
; %bb.69:                               ;   in Loop: Header=BB1_30 Depth=1
	buffer_load_dword v18, v8, s[0:3], 0 offen
	buffer_load_dword v19, v8, s[0:3], 0 offen offset:4
	v_add_u32_e32 v22, -8, v20
.LBB1_70:                               ;   in Loop: Header=BB1_30 Depth=1
	s_or_b64 exec, exec, s[4:5]
	v_cmp_gt_u32_e64 s[4:5], 8, v22
	v_add_u32_e32 v8, 8, v9
                                        ; implicit-def: $vgpr20_vgpr21
	s_and_saveexec_b64 s[6:7], s[4:5]
	s_xor_b64 s[6:7], exec, s[6:7]
	s_cbranch_execz .LBB1_76
; %bb.71:                               ;   in Loop: Header=BB1_30 Depth=1
	v_mov_b32_e32 v20, 0
	v_mov_b32_e32 v21, 0
	v_cmp_ne_u32_e64 s[4:5], 0, v22
	s_and_saveexec_b64 s[14:15], s[4:5]
	s_cbranch_execz .LBB1_75
; %bb.72:                               ;   in Loop: Header=BB1_30 Depth=1
	v_mov_b32_e32 v20, 0
	s_mov_b32 s22, 0
	s_mov_b64 s[16:17], 0
	v_mov_b32_e32 v21, 0
	s_mov_b64 s[18:19], 0
.LBB1_73:                               ;   Parent Loop BB1_30 Depth=1
                                        ; =>  This Inner Loop Header: Depth=2
	v_add_u32_e32 v8, s22, v9
	buffer_load_ubyte v8, v8, s[0:3], 0 offen
	v_mov_b32_e32 v24, s20
	s_add_i32 s22, s22, 1
	v_cmp_eq_u32_e64 s[4:5], s22, v22
	s_waitcnt vmcnt(0)
	v_and_b32_e32 v23, 0xffff, v8
	v_lshlrev_b64 v[23:24], s18, v[23:24]
	s_add_u32 s18, s18, 8
	s_addc_u32 s19, s19, 0
	v_or_b32_e32 v21, v24, v21
	s_or_b64 s[16:17], s[4:5], s[16:17]
	v_or_b32_e32 v20, v23, v20
	s_andn2_b64 exec, exec, s[16:17]
	s_cbranch_execnz .LBB1_73
; %bb.74:                               ;   in Loop: Header=BB1_30 Depth=1
	s_or_b64 exec, exec, s[16:17]
.LBB1_75:                               ;   in Loop: Header=BB1_30 Depth=1
	s_or_b64 exec, exec, s[14:15]
	v_mov_b32_e32 v8, v9
                                        ; implicit-def: $vgpr22
.LBB1_76:                               ;   in Loop: Header=BB1_30 Depth=1
	s_or_saveexec_b64 s[4:5], s[6:7]
	v_mov_b32_e32 v24, 0
	s_xor_b64 exec, exec, s[4:5]
	s_cbranch_execz .LBB1_78
; %bb.77:                               ;   in Loop: Header=BB1_30 Depth=1
	buffer_load_dword v20, v9, s[0:3], 0 offen
	buffer_load_dword v21, v9, s[0:3], 0 offen offset:4
	v_add_u32_e32 v24, -8, v22
.LBB1_78:                               ;   in Loop: Header=BB1_30 Depth=1
	s_or_b64 exec, exec, s[4:5]
	v_cmp_gt_u32_e64 s[4:5], 8, v24
	s_and_saveexec_b64 s[6:7], s[4:5]
	s_xor_b64 s[6:7], exec, s[6:7]
	s_cbranch_execz .LBB1_84
; %bb.79:                               ;   in Loop: Header=BB1_30 Depth=1
	v_mov_b32_e32 v22, 0
	v_mov_b32_e32 v23, 0
	v_cmp_ne_u32_e64 s[4:5], 0, v24
	s_and_saveexec_b64 s[14:15], s[4:5]
	s_cbranch_execz .LBB1_83
; %bb.80:                               ;   in Loop: Header=BB1_30 Depth=1
	v_mov_b32_e32 v22, 0
	s_mov_b64 s[16:17], 0
	v_mov_b32_e32 v23, 0
	s_mov_b64 s[18:19], 0
.LBB1_81:                               ;   Parent Loop BB1_30 Depth=1
                                        ; =>  This Inner Loop Header: Depth=2
	buffer_load_ubyte v9, v8, s[0:3], 0 offen
	v_mov_b32_e32 v26, s20
	v_add_u32_e32 v24, -1, v24
	v_cmp_eq_u32_e64 s[4:5], 0, v24
	v_add_u32_e32 v8, 1, v8
	s_waitcnt vmcnt(0)
	v_and_b32_e32 v25, 0xffff, v9
	v_lshlrev_b64 v[25:26], s18, v[25:26]
	s_add_u32 s18, s18, 8
	s_addc_u32 s19, s19, 0
	v_or_b32_e32 v23, v26, v23
	s_or_b64 s[16:17], s[4:5], s[16:17]
	v_or_b32_e32 v22, v25, v22
	s_andn2_b64 exec, exec, s[16:17]
	s_cbranch_execnz .LBB1_81
; %bb.82:                               ;   in Loop: Header=BB1_30 Depth=1
	s_or_b64 exec, exec, s[16:17]
.LBB1_83:                               ;   in Loop: Header=BB1_30 Depth=1
	s_or_b64 exec, exec, s[14:15]
                                        ; implicit-def: $vgpr8
.LBB1_84:                               ;   in Loop: Header=BB1_30 Depth=1
	s_andn2_saveexec_b64 s[4:5], s[6:7]
	s_cbranch_execz .LBB1_86
; %bb.85:                               ;   in Loop: Header=BB1_30 Depth=1
	buffer_load_dword v22, v8, s[0:3], 0 offen
	buffer_load_dword v23, v8, s[0:3], 0 offen offset:4
.LBB1_86:                               ;   in Loop: Header=BB1_30 Depth=1
	s_or_b64 exec, exec, s[4:5]
	v_readfirstlane_b32 s4, v34
	v_mov_b32_e32 v8, 0
	v_mov_b32_e32 v9, 0
	v_cmp_eq_u32_e64 s[4:5], s4, v34
	s_and_saveexec_b64 s[14:15], s[4:5]
	s_cbranch_execz .LBB1_92
; %bb.87:                               ;   in Loop: Header=BB1_30 Depth=1
	global_load_dwordx2 v[26:27], v31, s[10:11] offset:24 glc
	s_waitcnt vmcnt(0)
	buffer_wbinvl1_vol
	global_load_dwordx2 v[8:9], v31, s[10:11] offset:40
	global_load_dwordx2 v[24:25], v31, s[10:11]
	s_waitcnt vmcnt(1)
	v_and_b32_e32 v8, v8, v26
	v_and_b32_e32 v9, v9, v27
	v_mul_lo_u32 v9, v9, 24
	v_mul_hi_u32 v30, v8, 24
	v_mul_lo_u32 v8, v8, 24
	v_add_u32_e32 v9, v30, v9
	s_waitcnt vmcnt(0)
	v_add_co_u32_e64 v8, s[6:7], v24, v8
	v_addc_co_u32_e64 v9, s[6:7], v25, v9, s[6:7]
	global_load_dwordx2 v[24:25], v[8:9], off glc
	s_waitcnt vmcnt(0)
	global_atomic_cmpswap_x2 v[8:9], v31, v[24:27], s[10:11] offset:24 glc
	s_waitcnt vmcnt(0)
	buffer_wbinvl1_vol
	v_cmp_ne_u64_e64 s[6:7], v[8:9], v[26:27]
	s_and_saveexec_b64 s[16:17], s[6:7]
	s_cbranch_execz .LBB1_91
; %bb.88:                               ;   in Loop: Header=BB1_30 Depth=1
	s_mov_b64 s[18:19], 0
.LBB1_89:                               ;   Parent Loop BB1_30 Depth=1
                                        ; =>  This Inner Loop Header: Depth=2
	s_sleep 1
	global_load_dwordx2 v[24:25], v31, s[10:11] offset:40
	global_load_dwordx2 v[32:33], v31, s[10:11]
	v_mov_b32_e32 v27, v9
	v_mov_b32_e32 v26, v8
	s_waitcnt vmcnt(1)
	v_and_b32_e32 v8, v24, v26
	s_waitcnt vmcnt(0)
	v_mad_u64_u32 v[8:9], s[6:7], v8, 24, v[32:33]
	v_and_b32_e32 v24, v25, v27
	v_mad_u64_u32 v[24:25], s[6:7], v24, 24, v[9:10]
	v_mov_b32_e32 v9, v24
	global_load_dwordx2 v[24:25], v[8:9], off glc
	s_waitcnt vmcnt(0)
	global_atomic_cmpswap_x2 v[8:9], v31, v[24:27], s[10:11] offset:24 glc
	s_waitcnt vmcnt(0)
	buffer_wbinvl1_vol
	v_cmp_eq_u64_e64 s[6:7], v[8:9], v[26:27]
	s_or_b64 s[18:19], s[6:7], s[18:19]
	s_andn2_b64 exec, exec, s[18:19]
	s_cbranch_execnz .LBB1_89
; %bb.90:                               ;   in Loop: Header=BB1_30 Depth=1
	s_or_b64 exec, exec, s[18:19]
.LBB1_91:                               ;   in Loop: Header=BB1_30 Depth=1
	s_or_b64 exec, exec, s[16:17]
.LBB1_92:                               ;   in Loop: Header=BB1_30 Depth=1
	s_or_b64 exec, exec, s[14:15]
	global_load_dwordx2 v[32:33], v31, s[10:11] offset:40
	global_load_dwordx4 v[24:27], v31, s[10:11]
	v_readfirstlane_b32 s15, v9
	v_readfirstlane_b32 s14, v8
	s_mov_b64 s[16:17], exec
	s_waitcnt vmcnt(1)
	v_readfirstlane_b32 s6, v32
	v_readfirstlane_b32 s7, v33
	s_and_b64 s[18:19], s[6:7], s[14:15]
	s_mul_i32 s6, s19, 24
	s_mul_hi_u32 s7, s18, 24
	s_mul_i32 s22, s18, 24
	s_add_i32 s6, s7, s6
	v_mov_b32_e32 v8, s6
	s_waitcnt vmcnt(0)
	v_add_co_u32_e64 v32, s[6:7], s22, v24
	v_addc_co_u32_e64 v33, s[6:7], v25, v8, s[6:7]
	s_and_saveexec_b64 s[6:7], s[4:5]
	s_cbranch_execz .LBB1_94
; %bb.93:                               ;   in Loop: Header=BB1_30 Depth=1
	v_mov_b32_e32 v8, s16
	v_mov_b32_e32 v9, s17
	global_store_dwordx4 v[32:33], v[8:11], off offset:8
.LBB1_94:                               ;   in Loop: Header=BB1_30 Depth=1
	s_or_b64 exec, exec, s[6:7]
	s_lshl_b64 s[6:7], s[18:19], 12
	v_cndmask_b32_e32 v39, 0, v29, vcc
	v_mov_b32_e32 v8, s7
	v_add_co_u32_e32 v26, vcc, s6, v26
	v_addc_co_u32_e32 v27, vcc, v27, v8, vcc
	v_cmp_gt_u64_e32 vcc, 57, v[28:29]
	v_and_b32_e32 v0, 0xffffff1f, v0
	v_cndmask_b32_e32 v8, 0, v36, vcc
	v_lshl_add_u32 v9, v38, 2, 28
	v_or_b32_e32 v0, v0, v8
	v_and_or_b32 v0, v9, s21, v0
	v_readfirstlane_b32 s6, v26
	v_readfirstlane_b32 s7, v27
	s_nop 4
	global_store_dwordx4 v35, v[0:3], s[6:7]
	global_store_dwordx4 v35, v[12:15], s[6:7] offset:16
	global_store_dwordx4 v35, v[16:19], s[6:7] offset:32
	global_store_dwordx4 v35, v[20:23], s[6:7] offset:48
	s_and_saveexec_b64 s[6:7], s[4:5]
	s_cbranch_execz .LBB1_102
; %bb.95:                               ;   in Loop: Header=BB1_30 Depth=1
	global_load_dwordx2 v[14:15], v31, s[10:11] offset:32 glc
	global_load_dwordx2 v[0:1], v31, s[10:11] offset:40
	v_mov_b32_e32 v12, s14
	v_mov_b32_e32 v13, s15
	s_waitcnt vmcnt(0)
	v_readfirstlane_b32 s16, v0
	v_readfirstlane_b32 s17, v1
	s_and_b64 s[16:17], s[16:17], s[14:15]
	s_mul_i32 s17, s17, 24
	s_mul_hi_u32 s18, s16, 24
	s_mul_i32 s16, s16, 24
	s_add_i32 s17, s18, s17
	v_mov_b32_e32 v0, s17
	v_add_co_u32_e32 v8, vcc, s16, v24
	v_addc_co_u32_e32 v9, vcc, v25, v0, vcc
	global_store_dwordx2 v[8:9], v[14:15], off
	s_waitcnt vmcnt(0)
	global_atomic_cmpswap_x2 v[2:3], v31, v[12:15], s[10:11] offset:32 glc
	s_waitcnt vmcnt(0)
	v_cmp_ne_u64_e32 vcc, v[2:3], v[14:15]
	s_and_saveexec_b64 s[16:17], vcc
	s_cbranch_execz .LBB1_98
; %bb.96:                               ;   in Loop: Header=BB1_30 Depth=1
	s_mov_b64 s[18:19], 0
.LBB1_97:                               ;   Parent Loop BB1_30 Depth=1
                                        ; =>  This Inner Loop Header: Depth=2
	s_sleep 1
	global_store_dwordx2 v[8:9], v[2:3], off
	v_mov_b32_e32 v0, s14
	v_mov_b32_e32 v1, s15
	s_waitcnt vmcnt(0)
	global_atomic_cmpswap_x2 v[0:1], v31, v[0:3], s[10:11] offset:32 glc
	s_waitcnt vmcnt(0)
	v_cmp_eq_u64_e32 vcc, v[0:1], v[2:3]
	v_mov_b32_e32 v3, v1
	s_or_b64 s[18:19], vcc, s[18:19]
	v_mov_b32_e32 v2, v0
	s_andn2_b64 exec, exec, s[18:19]
	s_cbranch_execnz .LBB1_97
.LBB1_98:                               ;   in Loop: Header=BB1_30 Depth=1
	s_or_b64 exec, exec, s[16:17]
	global_load_dwordx2 v[0:1], v31, s[10:11] offset:16
	s_mov_b64 s[18:19], exec
	v_mbcnt_lo_u32_b32 v2, s18, 0
	v_mbcnt_hi_u32_b32 v2, s19, v2
	v_cmp_eq_u32_e32 vcc, 0, v2
	s_and_saveexec_b64 s[16:17], vcc
	s_cbranch_execz .LBB1_100
; %bb.99:                               ;   in Loop: Header=BB1_30 Depth=1
	s_bcnt1_i32_b64 s18, s[18:19]
	v_mov_b32_e32 v30, s18
	s_waitcnt vmcnt(0)
	global_atomic_add_x2 v[0:1], v[30:31], off offset:8
.LBB1_100:                              ;   in Loop: Header=BB1_30 Depth=1
	s_or_b64 exec, exec, s[16:17]
	s_waitcnt vmcnt(0)
	global_load_dwordx2 v[2:3], v[0:1], off offset:16
	s_waitcnt vmcnt(0)
	v_cmp_eq_u64_e32 vcc, 0, v[2:3]
	s_cbranch_vccnz .LBB1_102
; %bb.101:                              ;   in Loop: Header=BB1_30 Depth=1
	global_load_dword v30, v[0:1], off offset:24
	s_waitcnt vmcnt(0)
	v_readfirstlane_b32 s16, v30
	s_and_b32 m0, s16, 0xffffff
	global_store_dwordx2 v[2:3], v[30:31], off
	s_sendmsg sendmsg(MSG_INTERRUPT)
.LBB1_102:                              ;   in Loop: Header=BB1_30 Depth=1
	s_or_b64 exec, exec, s[6:7]
	v_add_co_u32_e32 v0, vcc, v26, v35
	v_addc_co_u32_e32 v1, vcc, 0, v27, vcc
	s_branch .LBB1_106
.LBB1_103:                              ;   in Loop: Header=BB1_106 Depth=2
	s_or_b64 exec, exec, s[6:7]
	v_readfirstlane_b32 s6, v2
	s_cmp_eq_u32 s6, 0
	s_cbranch_scc1 .LBB1_105
; %bb.104:                              ;   in Loop: Header=BB1_106 Depth=2
	s_sleep 1
	s_cbranch_execnz .LBB1_106
	s_branch .LBB1_108
.LBB1_105:                              ;   in Loop: Header=BB1_30 Depth=1
	s_branch .LBB1_108
.LBB1_106:                              ;   Parent Loop BB1_30 Depth=1
                                        ; =>  This Inner Loop Header: Depth=2
	v_mov_b32_e32 v2, 1
	s_and_saveexec_b64 s[6:7], s[4:5]
	s_cbranch_execz .LBB1_103
; %bb.107:                              ;   in Loop: Header=BB1_106 Depth=2
	global_load_dword v2, v[32:33], off offset:20 glc
	s_waitcnt vmcnt(0)
	buffer_wbinvl1_vol
	v_and_b32_e32 v2, 1, v2
	s_branch .LBB1_103
.LBB1_108:                              ;   in Loop: Header=BB1_30 Depth=1
	global_load_dwordx2 v[0:1], v[0:1], off
	s_and_saveexec_b64 s[6:7], s[4:5]
	s_cbranch_execz .LBB1_29
; %bb.109:                              ;   in Loop: Header=BB1_30 Depth=1
	global_load_dwordx2 v[2:3], v31, s[10:11] offset:40
	global_load_dwordx2 v[16:17], v31, s[10:11] offset:24 glc
	global_load_dwordx2 v[8:9], v31, s[10:11]
	s_waitcnt vmcnt(2)
	v_readfirstlane_b32 s16, v2
	v_readfirstlane_b32 s17, v3
	s_add_u32 s18, s16, 1
	s_addc_u32 s19, s17, 0
	s_add_u32 s4, s18, s14
	s_addc_u32 s5, s19, s15
	s_cmp_eq_u64 s[4:5], 0
	s_cselect_b32 s5, s19, s5
	s_cselect_b32 s4, s18, s4
	s_and_b64 s[14:15], s[4:5], s[16:17]
	s_mul_i32 s15, s15, 24
	s_mul_hi_u32 s16, s14, 24
	s_mul_i32 s14, s14, 24
	s_add_i32 s15, s16, s15
	v_mov_b32_e32 v3, s15
	s_waitcnt vmcnt(0)
	v_add_co_u32_e32 v2, vcc, s14, v8
	v_addc_co_u32_e32 v3, vcc, v9, v3, vcc
	v_mov_b32_e32 v14, s4
	global_store_dwordx2 v[2:3], v[16:17], off
	v_mov_b32_e32 v15, s5
	s_waitcnt vmcnt(0)
	global_atomic_cmpswap_x2 v[14:15], v31, v[14:17], s[10:11] offset:24 glc
	s_waitcnt vmcnt(0)
	v_cmp_ne_u64_e32 vcc, v[14:15], v[16:17]
	s_and_b64 exec, exec, vcc
	s_cbranch_execz .LBB1_29
; %bb.110:                              ;   in Loop: Header=BB1_30 Depth=1
	s_mov_b64 s[14:15], 0
.LBB1_111:                              ;   Parent Loop BB1_30 Depth=1
                                        ; =>  This Inner Loop Header: Depth=2
	s_sleep 1
	global_store_dwordx2 v[2:3], v[14:15], off
	v_mov_b32_e32 v12, s4
	v_mov_b32_e32 v13, s5
	s_waitcnt vmcnt(0)
	global_atomic_cmpswap_x2 v[8:9], v31, v[12:15], s[10:11] offset:24 glc
	s_waitcnt vmcnt(0)
	v_cmp_eq_u64_e32 vcc, v[8:9], v[14:15]
	v_mov_b32_e32 v15, v9
	s_or_b64 s[14:15], vcc, s[14:15]
	v_mov_b32_e32 v14, v8
	s_andn2_b64 exec, exec, s[14:15]
	s_cbranch_execnz .LBB1_111
	s_branch .LBB1_29
.LBB1_112:
                                        ; implicit-def: $vgpr0_vgpr1
	s_cbranch_execnz .LBB1_114
	s_branch .LBB1_140
.LBB1_113:
	s_or_b64 exec, exec, s[12:13]
	s_branch .LBB1_140
.LBB1_114:
	v_readfirstlane_b32 s4, v34
	v_mov_b32_e32 v9, 0
	v_mov_b32_e32 v10, 0
	v_cmp_eq_u32_e64 s[4:5], s4, v34
	s_and_saveexec_b64 s[6:7], s[4:5]
	s_cbranch_execz .LBB1_120
; %bb.115:
	s_waitcnt vmcnt(0)
	v_mov_b32_e32 v0, 0
	global_load_dwordx2 v[11:12], v0, s[10:11] offset:24 glc
	s_waitcnt vmcnt(0)
	buffer_wbinvl1_vol
	global_load_dwordx2 v[1:2], v0, s[10:11] offset:40
	global_load_dwordx2 v[8:9], v0, s[10:11]
	s_waitcnt vmcnt(1)
	v_and_b32_e32 v1, v1, v11
	v_and_b32_e32 v2, v2, v12
	v_mul_lo_u32 v2, v2, 24
	v_mul_hi_u32 v3, v1, 24
	v_mul_lo_u32 v1, v1, 24
	v_add_u32_e32 v2, v3, v2
	s_waitcnt vmcnt(0)
	v_add_co_u32_e32 v1, vcc, v8, v1
	v_addc_co_u32_e32 v2, vcc, v9, v2, vcc
	global_load_dwordx2 v[9:10], v[1:2], off glc
	s_waitcnt vmcnt(0)
	global_atomic_cmpswap_x2 v[9:10], v0, v[9:12], s[10:11] offset:24 glc
	s_waitcnt vmcnt(0)
	buffer_wbinvl1_vol
	v_cmp_ne_u64_e32 vcc, v[9:10], v[11:12]
	s_and_saveexec_b64 s[12:13], vcc
	s_cbranch_execz .LBB1_119
; %bb.116:
	s_mov_b64 s[14:15], 0
.LBB1_117:                              ; =>This Inner Loop Header: Depth=1
	s_sleep 1
	global_load_dwordx2 v[1:2], v0, s[10:11] offset:40
	global_load_dwordx2 v[13:14], v0, s[10:11]
	v_mov_b32_e32 v12, v10
	v_mov_b32_e32 v11, v9
	s_waitcnt vmcnt(1)
	v_and_b32_e32 v1, v1, v11
	s_waitcnt vmcnt(0)
	v_mad_u64_u32 v[8:9], s[16:17], v1, 24, v[13:14]
	v_and_b32_e32 v2, v2, v12
	v_mov_b32_e32 v1, v9
	v_mad_u64_u32 v[1:2], s[16:17], v2, 24, v[1:2]
	v_mov_b32_e32 v9, v1
	global_load_dwordx2 v[9:10], v[8:9], off glc
	s_waitcnt vmcnt(0)
	global_atomic_cmpswap_x2 v[9:10], v0, v[9:12], s[10:11] offset:24 glc
	s_waitcnt vmcnt(0)
	buffer_wbinvl1_vol
	v_cmp_eq_u64_e32 vcc, v[9:10], v[11:12]
	s_or_b64 s[14:15], vcc, s[14:15]
	s_andn2_b64 exec, exec, s[14:15]
	s_cbranch_execnz .LBB1_117
; %bb.118:
	s_or_b64 exec, exec, s[14:15]
.LBB1_119:
	s_or_b64 exec, exec, s[12:13]
.LBB1_120:
	s_or_b64 exec, exec, s[6:7]
	v_mov_b32_e32 v8, 0
	global_load_dwordx2 v[11:12], v8, s[10:11] offset:40
	global_load_dwordx4 v[0:3], v8, s[10:11]
	v_readfirstlane_b32 s7, v10
	v_readfirstlane_b32 s6, v9
	s_mov_b64 s[12:13], exec
	s_waitcnt vmcnt(1)
	v_readfirstlane_b32 s14, v11
	v_readfirstlane_b32 s15, v12
	s_and_b64 s[14:15], s[14:15], s[6:7]
	s_mul_i32 s16, s15, 24
	s_mul_hi_u32 s17, s14, 24
	s_mul_i32 s18, s14, 24
	s_add_i32 s16, s17, s16
	v_mov_b32_e32 v9, s16
	s_waitcnt vmcnt(0)
	v_add_co_u32_e32 v10, vcc, s18, v0
	v_addc_co_u32_e32 v11, vcc, v1, v9, vcc
	s_and_saveexec_b64 s[16:17], s[4:5]
	s_cbranch_execz .LBB1_122
; %bb.121:
	v_mov_b32_e32 v12, s12
	v_mov_b32_e32 v13, s13
	;; [unrolled: 1-line block ×4, first 2 shown]
	global_store_dwordx4 v[10:11], v[12:15], off offset:8
.LBB1_122:
	s_or_b64 exec, exec, s[16:17]
	s_lshl_b64 s[12:13], s[14:15], 12
	v_mov_b32_e32 v9, s13
	v_add_co_u32_e32 v2, vcc, s12, v2
	v_addc_co_u32_e32 v3, vcc, v3, v9, vcc
	s_movk_i32 s12, 0xff1f
	v_and_or_b32 v6, v6, s12, 32
	s_mov_b32 s12, 0
	v_mov_b32_e32 v9, v8
	v_readfirstlane_b32 s16, v2
	v_readfirstlane_b32 s17, v3
	v_add_co_u32_e32 v12, vcc, v2, v35
	s_mov_b32 s13, s12
	s_mov_b32 s14, s12
	;; [unrolled: 1-line block ×3, first 2 shown]
	s_nop 0
	global_store_dwordx4 v35, v[6:9], s[16:17]
	v_addc_co_u32_e32 v13, vcc, 0, v3, vcc
	v_mov_b32_e32 v6, s12
	v_mov_b32_e32 v7, s13
	;; [unrolled: 1-line block ×4, first 2 shown]
	global_store_dwordx4 v35, v[6:9], s[16:17] offset:16
	global_store_dwordx4 v35, v[6:9], s[16:17] offset:32
	;; [unrolled: 1-line block ×3, first 2 shown]
	s_and_saveexec_b64 s[12:13], s[4:5]
	s_cbranch_execz .LBB1_130
; %bb.123:
	v_mov_b32_e32 v8, 0
	global_load_dwordx2 v[16:17], v8, s[10:11] offset:32 glc
	global_load_dwordx2 v[2:3], v8, s[10:11] offset:40
	v_mov_b32_e32 v14, s6
	v_mov_b32_e32 v15, s7
	s_waitcnt vmcnt(0)
	v_readfirstlane_b32 s14, v2
	v_readfirstlane_b32 s15, v3
	s_and_b64 s[14:15], s[14:15], s[6:7]
	s_mul_i32 s15, s15, 24
	s_mul_hi_u32 s16, s14, 24
	s_mul_i32 s14, s14, 24
	s_add_i32 s15, s16, s15
	v_mov_b32_e32 v2, s15
	v_add_co_u32_e32 v6, vcc, s14, v0
	v_addc_co_u32_e32 v7, vcc, v1, v2, vcc
	global_store_dwordx2 v[6:7], v[16:17], off
	s_waitcnt vmcnt(0)
	global_atomic_cmpswap_x2 v[2:3], v8, v[14:17], s[10:11] offset:32 glc
	s_waitcnt vmcnt(0)
	v_cmp_ne_u64_e32 vcc, v[2:3], v[16:17]
	s_and_saveexec_b64 s[14:15], vcc
	s_cbranch_execz .LBB1_126
; %bb.124:
	s_mov_b64 s[16:17], 0
.LBB1_125:                              ; =>This Inner Loop Header: Depth=1
	s_sleep 1
	global_store_dwordx2 v[6:7], v[2:3], off
	v_mov_b32_e32 v0, s6
	v_mov_b32_e32 v1, s7
	s_waitcnt vmcnt(0)
	global_atomic_cmpswap_x2 v[0:1], v8, v[0:3], s[10:11] offset:32 glc
	s_waitcnt vmcnt(0)
	v_cmp_eq_u64_e32 vcc, v[0:1], v[2:3]
	v_mov_b32_e32 v3, v1
	s_or_b64 s[16:17], vcc, s[16:17]
	v_mov_b32_e32 v2, v0
	s_andn2_b64 exec, exec, s[16:17]
	s_cbranch_execnz .LBB1_125
.LBB1_126:
	s_or_b64 exec, exec, s[14:15]
	v_mov_b32_e32 v3, 0
	global_load_dwordx2 v[0:1], v3, s[10:11] offset:16
	s_mov_b64 s[14:15], exec
	v_mbcnt_lo_u32_b32 v2, s14, 0
	v_mbcnt_hi_u32_b32 v2, s15, v2
	v_cmp_eq_u32_e32 vcc, 0, v2
	s_and_saveexec_b64 s[16:17], vcc
	s_cbranch_execz .LBB1_128
; %bb.127:
	s_bcnt1_i32_b64 s14, s[14:15]
	v_mov_b32_e32 v2, s14
	s_waitcnt vmcnt(0)
	global_atomic_add_x2 v[0:1], v[2:3], off offset:8
.LBB1_128:
	s_or_b64 exec, exec, s[16:17]
	s_waitcnt vmcnt(0)
	global_load_dwordx2 v[2:3], v[0:1], off offset:16
	s_waitcnt vmcnt(0)
	v_cmp_eq_u64_e32 vcc, 0, v[2:3]
	s_cbranch_vccnz .LBB1_130
; %bb.129:
	global_load_dword v0, v[0:1], off offset:24
	v_mov_b32_e32 v1, 0
	s_waitcnt vmcnt(0)
	v_readfirstlane_b32 s14, v0
	s_and_b32 m0, s14, 0xffffff
	global_store_dwordx2 v[2:3], v[0:1], off
	s_sendmsg sendmsg(MSG_INTERRUPT)
.LBB1_130:
	s_or_b64 exec, exec, s[12:13]
	s_branch .LBB1_134
.LBB1_131:                              ;   in Loop: Header=BB1_134 Depth=1
	s_or_b64 exec, exec, s[12:13]
	v_readfirstlane_b32 s12, v0
	s_cmp_eq_u32 s12, 0
	s_cbranch_scc1 .LBB1_133
; %bb.132:                              ;   in Loop: Header=BB1_134 Depth=1
	s_sleep 1
	s_cbranch_execnz .LBB1_134
	s_branch .LBB1_136
.LBB1_133:
	s_branch .LBB1_136
.LBB1_134:                              ; =>This Inner Loop Header: Depth=1
	v_mov_b32_e32 v0, 1
	s_and_saveexec_b64 s[12:13], s[4:5]
	s_cbranch_execz .LBB1_131
; %bb.135:                              ;   in Loop: Header=BB1_134 Depth=1
	global_load_dword v0, v[10:11], off offset:20 glc
	s_waitcnt vmcnt(0)
	buffer_wbinvl1_vol
	v_and_b32_e32 v0, 1, v0
	s_branch .LBB1_131
.LBB1_136:
	global_load_dwordx2 v[0:1], v[12:13], off
	s_and_saveexec_b64 s[12:13], s[4:5]
	s_cbranch_execz .LBB1_139
; %bb.137:
	v_mov_b32_e32 v10, 0
	global_load_dwordx2 v[2:3], v10, s[10:11] offset:40
	global_load_dwordx2 v[13:14], v10, s[10:11] offset:24 glc
	global_load_dwordx2 v[6:7], v10, s[10:11]
	s_waitcnt vmcnt(2)
	v_readfirstlane_b32 s14, v2
	v_readfirstlane_b32 s15, v3
	s_add_u32 s16, s14, 1
	s_addc_u32 s17, s15, 0
	s_add_u32 s4, s16, s6
	s_addc_u32 s5, s17, s7
	s_cmp_eq_u64 s[4:5], 0
	s_cselect_b32 s5, s17, s5
	s_cselect_b32 s4, s16, s4
	s_and_b64 s[6:7], s[4:5], s[14:15]
	s_mul_i32 s7, s7, 24
	s_mul_hi_u32 s14, s6, 24
	s_mul_i32 s6, s6, 24
	s_add_i32 s7, s14, s7
	v_mov_b32_e32 v3, s7
	s_waitcnt vmcnt(0)
	v_add_co_u32_e32 v2, vcc, s6, v6
	v_addc_co_u32_e32 v3, vcc, v7, v3, vcc
	v_mov_b32_e32 v11, s4
	global_store_dwordx2 v[2:3], v[13:14], off
	v_mov_b32_e32 v12, s5
	s_waitcnt vmcnt(0)
	global_atomic_cmpswap_x2 v[8:9], v10, v[11:14], s[10:11] offset:24 glc
	s_mov_b64 s[6:7], 0
	s_waitcnt vmcnt(0)
	v_cmp_ne_u64_e32 vcc, v[8:9], v[13:14]
	s_and_b64 exec, exec, vcc
	s_cbranch_execz .LBB1_139
.LBB1_138:                              ; =>This Inner Loop Header: Depth=1
	s_sleep 1
	global_store_dwordx2 v[2:3], v[8:9], off
	v_mov_b32_e32 v6, s4
	v_mov_b32_e32 v7, s5
	s_waitcnt vmcnt(0)
	global_atomic_cmpswap_x2 v[6:7], v10, v[6:9], s[10:11] offset:24 glc
	s_waitcnt vmcnt(0)
	v_cmp_eq_u64_e32 vcc, v[6:7], v[8:9]
	v_mov_b32_e32 v9, v7
	s_or_b64 s[6:7], vcc, s[6:7]
	v_mov_b32_e32 v8, v6
	s_andn2_b64 exec, exec, s[6:7]
	s_cbranch_execnz .LBB1_138
.LBB1_139:
	s_or_b64 exec, exec, s[12:13]
.LBB1_140:
	s_getpc_b64 s[6:7]
	s_add_u32 s6, s6, .str.4@rel32@lo+4
	s_addc_u32 s7, s7, .str.4@rel32@hi+12
	s_cmp_lg_u64 s[6:7], 0
	s_cbranch_scc0 .LBB1_225
; %bb.141:
	s_getpc_b64 s[4:5]
	s_add_u32 s4, s4, .str.4@rel32@lo+80
	s_addc_u32 s5, s5, .str.4@rel32@hi+88
	s_sub_i32 s12, s4, s6
	s_ashr_i32 s13, s12, 31
	s_waitcnt vmcnt(0)
	v_and_b32_e32 v32, 2, v0
	v_mov_b32_e32 v3, 0
	v_and_b32_e32 v6, -3, v0
	v_mov_b32_e32 v7, v1
	v_mov_b32_e32 v12, 2
	;; [unrolled: 1-line block ×3, first 2 shown]
	s_branch .LBB1_143
.LBB1_142:                              ;   in Loop: Header=BB1_143 Depth=1
	s_or_b64 exec, exec, s[18:19]
	s_sub_u32 s12, s12, s14
	s_subb_u32 s13, s13, s15
	s_add_u32 s6, s6, s14
	s_addc_u32 s7, s7, s15
	s_cmp_lg_u64 s[12:13], 0
	s_cbranch_scc0 .LBB1_226
.LBB1_143:                              ; =>This Loop Header: Depth=1
                                        ;     Child Loop BB1_146 Depth 2
                                        ;     Child Loop BB1_154 Depth 2
                                        ;     Child Loop BB1_162 Depth 2
                                        ;     Child Loop BB1_170 Depth 2
                                        ;     Child Loop BB1_178 Depth 2
                                        ;     Child Loop BB1_186 Depth 2
                                        ;     Child Loop BB1_194 Depth 2
                                        ;     Child Loop BB1_202 Depth 2
                                        ;     Child Loop BB1_210 Depth 2
                                        ;     Child Loop BB1_219 Depth 2
                                        ;     Child Loop BB1_224 Depth 2
	v_cmp_lt_u64_e64 s[4:5], s[12:13], 56
	v_cmp_gt_u64_e64 s[16:17], s[12:13], 7
	s_and_b64 s[4:5], s[4:5], exec
	s_cselect_b32 s15, s13, 0
	s_cselect_b32 s14, s12, 56
	s_add_u32 s4, s6, 8
	s_addc_u32 s5, s7, 0
	s_and_b64 vcc, exec, s[16:17]
	s_cbranch_vccnz .LBB1_147
; %bb.144:                              ;   in Loop: Header=BB1_143 Depth=1
	s_cmp_eq_u64 s[12:13], 0
	s_cbranch_scc1 .LBB1_148
; %bb.145:                              ;   in Loop: Header=BB1_143 Depth=1
	v_mov_b32_e32 v8, 0
	s_lshl_b64 s[4:5], s[14:15], 3
	s_mov_b64 s[16:17], 0
	v_mov_b32_e32 v9, 0
	s_mov_b64 s[18:19], s[6:7]
.LBB1_146:                              ;   Parent Loop BB1_143 Depth=1
                                        ; =>  This Inner Loop Header: Depth=2
	global_load_ubyte v2, v3, s[18:19]
	s_waitcnt vmcnt(0)
	v_and_b32_e32 v2, 0xffff, v2
	v_lshlrev_b64 v[10:11], s16, v[2:3]
	s_add_u32 s16, s16, 8
	s_addc_u32 s17, s17, 0
	s_add_u32 s18, s18, 1
	s_addc_u32 s19, s19, 0
	v_or_b32_e32 v8, v10, v8
	s_cmp_lg_u32 s4, s16
	v_or_b32_e32 v9, v11, v9
	s_cbranch_scc1 .LBB1_146
	s_branch .LBB1_149
.LBB1_147:                              ;   in Loop: Header=BB1_143 Depth=1
	s_mov_b32 s20, 0
	s_branch .LBB1_150
.LBB1_148:                              ;   in Loop: Header=BB1_143 Depth=1
	v_mov_b32_e32 v8, 0
	v_mov_b32_e32 v9, 0
.LBB1_149:                              ;   in Loop: Header=BB1_143 Depth=1
	s_mov_b64 s[4:5], s[6:7]
	s_mov_b32 s20, 0
	s_cbranch_execnz .LBB1_151
.LBB1_150:                              ;   in Loop: Header=BB1_143 Depth=1
	global_load_dwordx2 v[8:9], v3, s[6:7]
	s_add_i32 s20, s14, -8
.LBB1_151:                              ;   in Loop: Header=BB1_143 Depth=1
	s_add_u32 s16, s4, 8
	s_addc_u32 s17, s5, 0
	s_cmp_gt_u32 s20, 7
	s_cbranch_scc1 .LBB1_155
; %bb.152:                              ;   in Loop: Header=BB1_143 Depth=1
	s_cmp_eq_u32 s20, 0
	s_cbranch_scc1 .LBB1_156
; %bb.153:                              ;   in Loop: Header=BB1_143 Depth=1
	v_mov_b32_e32 v14, 0
	s_mov_b64 s[16:17], 0
	v_mov_b32_e32 v15, 0
	s_mov_b64 s[18:19], 0
.LBB1_154:                              ;   Parent Loop BB1_143 Depth=1
                                        ; =>  This Inner Loop Header: Depth=2
	s_add_u32 s22, s4, s18
	s_addc_u32 s23, s5, s19
	global_load_ubyte v2, v3, s[22:23]
	s_add_u32 s18, s18, 1
	s_addc_u32 s19, s19, 0
	s_waitcnt vmcnt(0)
	v_and_b32_e32 v2, 0xffff, v2
	v_lshlrev_b64 v[10:11], s16, v[2:3]
	s_add_u32 s16, s16, 8
	s_addc_u32 s17, s17, 0
	v_or_b32_e32 v14, v10, v14
	s_cmp_lg_u32 s20, s18
	v_or_b32_e32 v15, v11, v15
	s_cbranch_scc1 .LBB1_154
	s_branch .LBB1_157
.LBB1_155:                              ;   in Loop: Header=BB1_143 Depth=1
                                        ; implicit-def: $vgpr14_vgpr15
	s_mov_b32 s21, 0
	s_branch .LBB1_158
.LBB1_156:                              ;   in Loop: Header=BB1_143 Depth=1
	v_mov_b32_e32 v14, 0
	v_mov_b32_e32 v15, 0
.LBB1_157:                              ;   in Loop: Header=BB1_143 Depth=1
	s_mov_b64 s[16:17], s[4:5]
	s_mov_b32 s21, 0
	s_cbranch_execnz .LBB1_159
.LBB1_158:                              ;   in Loop: Header=BB1_143 Depth=1
	global_load_dwordx2 v[14:15], v3, s[4:5]
	s_add_i32 s21, s20, -8
.LBB1_159:                              ;   in Loop: Header=BB1_143 Depth=1
	s_add_u32 s4, s16, 8
	s_addc_u32 s5, s17, 0
	s_cmp_gt_u32 s21, 7
	s_cbranch_scc1 .LBB1_163
; %bb.160:                              ;   in Loop: Header=BB1_143 Depth=1
	s_cmp_eq_u32 s21, 0
	s_cbranch_scc1 .LBB1_164
; %bb.161:                              ;   in Loop: Header=BB1_143 Depth=1
	v_mov_b32_e32 v16, 0
	s_mov_b64 s[4:5], 0
	v_mov_b32_e32 v17, 0
	s_mov_b64 s[18:19], 0
.LBB1_162:                              ;   Parent Loop BB1_143 Depth=1
                                        ; =>  This Inner Loop Header: Depth=2
	s_add_u32 s22, s16, s18
	s_addc_u32 s23, s17, s19
	global_load_ubyte v2, v3, s[22:23]
	s_add_u32 s18, s18, 1
	s_addc_u32 s19, s19, 0
	s_waitcnt vmcnt(0)
	v_and_b32_e32 v2, 0xffff, v2
	v_lshlrev_b64 v[10:11], s4, v[2:3]
	s_add_u32 s4, s4, 8
	s_addc_u32 s5, s5, 0
	v_or_b32_e32 v16, v10, v16
	s_cmp_lg_u32 s21, s18
	v_or_b32_e32 v17, v11, v17
	s_cbranch_scc1 .LBB1_162
	s_branch .LBB1_165
.LBB1_163:                              ;   in Loop: Header=BB1_143 Depth=1
	s_mov_b32 s20, 0
	s_branch .LBB1_166
.LBB1_164:                              ;   in Loop: Header=BB1_143 Depth=1
	v_mov_b32_e32 v16, 0
	v_mov_b32_e32 v17, 0
.LBB1_165:                              ;   in Loop: Header=BB1_143 Depth=1
	s_mov_b64 s[4:5], s[16:17]
	s_mov_b32 s20, 0
	s_cbranch_execnz .LBB1_167
.LBB1_166:                              ;   in Loop: Header=BB1_143 Depth=1
	global_load_dwordx2 v[16:17], v3, s[16:17]
	s_add_i32 s20, s21, -8
.LBB1_167:                              ;   in Loop: Header=BB1_143 Depth=1
	s_add_u32 s16, s4, 8
	s_addc_u32 s17, s5, 0
	s_cmp_gt_u32 s20, 7
	s_cbranch_scc1 .LBB1_171
; %bb.168:                              ;   in Loop: Header=BB1_143 Depth=1
	s_cmp_eq_u32 s20, 0
	s_cbranch_scc1 .LBB1_172
; %bb.169:                              ;   in Loop: Header=BB1_143 Depth=1
	v_mov_b32_e32 v18, 0
	s_mov_b64 s[16:17], 0
	v_mov_b32_e32 v19, 0
	s_mov_b64 s[18:19], 0
.LBB1_170:                              ;   Parent Loop BB1_143 Depth=1
                                        ; =>  This Inner Loop Header: Depth=2
	s_add_u32 s22, s4, s18
	s_addc_u32 s23, s5, s19
	global_load_ubyte v2, v3, s[22:23]
	s_add_u32 s18, s18, 1
	s_addc_u32 s19, s19, 0
	s_waitcnt vmcnt(0)
	v_and_b32_e32 v2, 0xffff, v2
	v_lshlrev_b64 v[10:11], s16, v[2:3]
	s_add_u32 s16, s16, 8
	s_addc_u32 s17, s17, 0
	v_or_b32_e32 v18, v10, v18
	s_cmp_lg_u32 s20, s18
	v_or_b32_e32 v19, v11, v19
	s_cbranch_scc1 .LBB1_170
	s_branch .LBB1_173
.LBB1_171:                              ;   in Loop: Header=BB1_143 Depth=1
                                        ; implicit-def: $vgpr18_vgpr19
	s_mov_b32 s21, 0
	s_branch .LBB1_174
.LBB1_172:                              ;   in Loop: Header=BB1_143 Depth=1
	v_mov_b32_e32 v18, 0
	v_mov_b32_e32 v19, 0
.LBB1_173:                              ;   in Loop: Header=BB1_143 Depth=1
	s_mov_b64 s[16:17], s[4:5]
	s_mov_b32 s21, 0
	s_cbranch_execnz .LBB1_175
.LBB1_174:                              ;   in Loop: Header=BB1_143 Depth=1
	global_load_dwordx2 v[18:19], v3, s[4:5]
	s_add_i32 s21, s20, -8
.LBB1_175:                              ;   in Loop: Header=BB1_143 Depth=1
	s_add_u32 s4, s16, 8
	s_addc_u32 s5, s17, 0
	s_cmp_gt_u32 s21, 7
	s_cbranch_scc1 .LBB1_179
; %bb.176:                              ;   in Loop: Header=BB1_143 Depth=1
	s_cmp_eq_u32 s21, 0
	s_cbranch_scc1 .LBB1_180
; %bb.177:                              ;   in Loop: Header=BB1_143 Depth=1
	v_mov_b32_e32 v20, 0
	s_mov_b64 s[4:5], 0
	v_mov_b32_e32 v21, 0
	s_mov_b64 s[18:19], 0
.LBB1_178:                              ;   Parent Loop BB1_143 Depth=1
                                        ; =>  This Inner Loop Header: Depth=2
	s_add_u32 s22, s16, s18
	s_addc_u32 s23, s17, s19
	global_load_ubyte v2, v3, s[22:23]
	s_add_u32 s18, s18, 1
	s_addc_u32 s19, s19, 0
	s_waitcnt vmcnt(0)
	v_and_b32_e32 v2, 0xffff, v2
	v_lshlrev_b64 v[10:11], s4, v[2:3]
	s_add_u32 s4, s4, 8
	s_addc_u32 s5, s5, 0
	v_or_b32_e32 v20, v10, v20
	s_cmp_lg_u32 s21, s18
	v_or_b32_e32 v21, v11, v21
	s_cbranch_scc1 .LBB1_178
	s_branch .LBB1_181
.LBB1_179:                              ;   in Loop: Header=BB1_143 Depth=1
	s_mov_b32 s20, 0
	s_branch .LBB1_182
.LBB1_180:                              ;   in Loop: Header=BB1_143 Depth=1
	v_mov_b32_e32 v20, 0
	v_mov_b32_e32 v21, 0
.LBB1_181:                              ;   in Loop: Header=BB1_143 Depth=1
	s_mov_b64 s[4:5], s[16:17]
	s_mov_b32 s20, 0
	s_cbranch_execnz .LBB1_183
.LBB1_182:                              ;   in Loop: Header=BB1_143 Depth=1
	global_load_dwordx2 v[20:21], v3, s[16:17]
	s_add_i32 s20, s21, -8
.LBB1_183:                              ;   in Loop: Header=BB1_143 Depth=1
	s_add_u32 s16, s4, 8
	s_addc_u32 s17, s5, 0
	s_cmp_gt_u32 s20, 7
	s_cbranch_scc1 .LBB1_187
; %bb.184:                              ;   in Loop: Header=BB1_143 Depth=1
	s_cmp_eq_u32 s20, 0
	s_cbranch_scc1 .LBB1_188
; %bb.185:                              ;   in Loop: Header=BB1_143 Depth=1
	v_mov_b32_e32 v22, 0
	s_mov_b64 s[16:17], 0
	v_mov_b32_e32 v23, 0
	s_mov_b64 s[18:19], 0
.LBB1_186:                              ;   Parent Loop BB1_143 Depth=1
                                        ; =>  This Inner Loop Header: Depth=2
	s_add_u32 s22, s4, s18
	s_addc_u32 s23, s5, s19
	global_load_ubyte v2, v3, s[22:23]
	s_add_u32 s18, s18, 1
	s_addc_u32 s19, s19, 0
	s_waitcnt vmcnt(0)
	v_and_b32_e32 v2, 0xffff, v2
	v_lshlrev_b64 v[10:11], s16, v[2:3]
	s_add_u32 s16, s16, 8
	s_addc_u32 s17, s17, 0
	v_or_b32_e32 v22, v10, v22
	s_cmp_lg_u32 s20, s18
	v_or_b32_e32 v23, v11, v23
	s_cbranch_scc1 .LBB1_186
	s_branch .LBB1_189
.LBB1_187:                              ;   in Loop: Header=BB1_143 Depth=1
                                        ; implicit-def: $vgpr22_vgpr23
	s_mov_b32 s21, 0
	s_branch .LBB1_190
.LBB1_188:                              ;   in Loop: Header=BB1_143 Depth=1
	v_mov_b32_e32 v22, 0
	v_mov_b32_e32 v23, 0
.LBB1_189:                              ;   in Loop: Header=BB1_143 Depth=1
	s_mov_b64 s[16:17], s[4:5]
	s_mov_b32 s21, 0
	s_cbranch_execnz .LBB1_191
.LBB1_190:                              ;   in Loop: Header=BB1_143 Depth=1
	global_load_dwordx2 v[22:23], v3, s[4:5]
	s_add_i32 s21, s20, -8
.LBB1_191:                              ;   in Loop: Header=BB1_143 Depth=1
	s_cmp_gt_u32 s21, 7
	s_cbranch_scc1 .LBB1_195
; %bb.192:                              ;   in Loop: Header=BB1_143 Depth=1
	s_cmp_eq_u32 s21, 0
	s_cbranch_scc1 .LBB1_196
; %bb.193:                              ;   in Loop: Header=BB1_143 Depth=1
	v_mov_b32_e32 v24, 0
	s_mov_b64 s[4:5], 0
	v_mov_b32_e32 v25, 0
	s_mov_b64 s[18:19], s[16:17]
.LBB1_194:                              ;   Parent Loop BB1_143 Depth=1
                                        ; =>  This Inner Loop Header: Depth=2
	global_load_ubyte v2, v3, s[18:19]
	s_add_i32 s21, s21, -1
	s_waitcnt vmcnt(0)
	v_and_b32_e32 v2, 0xffff, v2
	v_lshlrev_b64 v[10:11], s4, v[2:3]
	s_add_u32 s4, s4, 8
	s_addc_u32 s5, s5, 0
	s_add_u32 s18, s18, 1
	s_addc_u32 s19, s19, 0
	v_or_b32_e32 v24, v10, v24
	s_cmp_lg_u32 s21, 0
	v_or_b32_e32 v25, v11, v25
	s_cbranch_scc1 .LBB1_194
	s_branch .LBB1_197
.LBB1_195:                              ;   in Loop: Header=BB1_143 Depth=1
	s_branch .LBB1_198
.LBB1_196:                              ;   in Loop: Header=BB1_143 Depth=1
	v_mov_b32_e32 v24, 0
	v_mov_b32_e32 v25, 0
.LBB1_197:                              ;   in Loop: Header=BB1_143 Depth=1
	s_cbranch_execnz .LBB1_199
.LBB1_198:                              ;   in Loop: Header=BB1_143 Depth=1
	global_load_dwordx2 v[24:25], v3, s[16:17]
.LBB1_199:                              ;   in Loop: Header=BB1_143 Depth=1
	v_readfirstlane_b32 s4, v34
	v_mov_b32_e32 v10, 0
	v_mov_b32_e32 v11, 0
	v_cmp_eq_u32_e64 s[4:5], s4, v34
	s_and_saveexec_b64 s[16:17], s[4:5]
	s_cbranch_execz .LBB1_205
; %bb.200:                              ;   in Loop: Header=BB1_143 Depth=1
	global_load_dwordx2 v[28:29], v3, s[10:11] offset:24 glc
	s_waitcnt vmcnt(0)
	buffer_wbinvl1_vol
	global_load_dwordx2 v[10:11], v3, s[10:11] offset:40
	global_load_dwordx2 v[26:27], v3, s[10:11]
	s_waitcnt vmcnt(1)
	v_and_b32_e32 v2, v10, v28
	v_and_b32_e32 v10, v11, v29
	v_mul_lo_u32 v10, v10, 24
	v_mul_hi_u32 v11, v2, 24
	v_mul_lo_u32 v2, v2, 24
	v_add_u32_e32 v11, v11, v10
	s_waitcnt vmcnt(0)
	v_add_co_u32_e32 v10, vcc, v26, v2
	v_addc_co_u32_e32 v11, vcc, v27, v11, vcc
	global_load_dwordx2 v[26:27], v[10:11], off glc
	s_waitcnt vmcnt(0)
	global_atomic_cmpswap_x2 v[10:11], v3, v[26:29], s[10:11] offset:24 glc
	s_waitcnt vmcnt(0)
	buffer_wbinvl1_vol
	v_cmp_ne_u64_e32 vcc, v[10:11], v[28:29]
	s_and_saveexec_b64 s[18:19], vcc
	s_cbranch_execz .LBB1_204
; %bb.201:                              ;   in Loop: Header=BB1_143 Depth=1
	s_mov_b64 s[20:21], 0
.LBB1_202:                              ;   Parent Loop BB1_143 Depth=1
                                        ; =>  This Inner Loop Header: Depth=2
	s_sleep 1
	global_load_dwordx2 v[26:27], v3, s[10:11] offset:40
	global_load_dwordx2 v[30:31], v3, s[10:11]
	v_mov_b32_e32 v29, v11
	v_mov_b32_e32 v28, v10
	s_waitcnt vmcnt(1)
	v_and_b32_e32 v2, v26, v28
	s_waitcnt vmcnt(0)
	v_mad_u64_u32 v[10:11], s[22:23], v2, 24, v[30:31]
	v_and_b32_e32 v26, v27, v29
	v_mov_b32_e32 v2, v11
	v_mad_u64_u32 v[26:27], s[22:23], v26, 24, v[2:3]
	v_mov_b32_e32 v11, v26
	global_load_dwordx2 v[26:27], v[10:11], off glc
	s_waitcnt vmcnt(0)
	global_atomic_cmpswap_x2 v[10:11], v3, v[26:29], s[10:11] offset:24 glc
	s_waitcnt vmcnt(0)
	buffer_wbinvl1_vol
	v_cmp_eq_u64_e32 vcc, v[10:11], v[28:29]
	s_or_b64 s[20:21], vcc, s[20:21]
	s_andn2_b64 exec, exec, s[20:21]
	s_cbranch_execnz .LBB1_202
; %bb.203:                              ;   in Loop: Header=BB1_143 Depth=1
	s_or_b64 exec, exec, s[20:21]
.LBB1_204:                              ;   in Loop: Header=BB1_143 Depth=1
	s_or_b64 exec, exec, s[18:19]
.LBB1_205:                              ;   in Loop: Header=BB1_143 Depth=1
	s_or_b64 exec, exec, s[16:17]
	global_load_dwordx2 v[30:31], v3, s[10:11] offset:40
	global_load_dwordx4 v[26:29], v3, s[10:11]
	v_readfirstlane_b32 s17, v11
	v_readfirstlane_b32 s16, v10
	s_mov_b64 s[18:19], exec
	s_waitcnt vmcnt(1)
	v_readfirstlane_b32 s20, v30
	v_readfirstlane_b32 s21, v31
	s_and_b64 s[20:21], s[20:21], s[16:17]
	s_mul_i32 s22, s21, 24
	s_mul_hi_u32 s23, s20, 24
	s_mul_i32 s24, s20, 24
	s_add_i32 s22, s23, s22
	v_mov_b32_e32 v2, s22
	s_waitcnt vmcnt(0)
	v_add_co_u32_e32 v30, vcc, s24, v26
	v_addc_co_u32_e32 v31, vcc, v27, v2, vcc
	s_and_saveexec_b64 s[22:23], s[4:5]
	s_cbranch_execz .LBB1_207
; %bb.206:                              ;   in Loop: Header=BB1_143 Depth=1
	v_mov_b32_e32 v10, s18
	v_mov_b32_e32 v11, s19
	global_store_dwordx4 v[30:31], v[10:13], off offset:8
.LBB1_207:                              ;   in Loop: Header=BB1_143 Depth=1
	s_or_b64 exec, exec, s[22:23]
	s_lshl_b64 s[18:19], s[20:21], 12
	v_mov_b32_e32 v2, s19
	v_add_co_u32_e32 v28, vcc, s18, v28
	v_addc_co_u32_e32 v29, vcc, v29, v2, vcc
	v_cmp_lt_u64_e64 vcc, s[12:13], 57
	s_lshl_b32 s18, s14, 2
	v_cndmask_b32_e32 v2, 0, v32, vcc
	s_add_i32 s18, s18, 28
	v_and_b32_e32 v6, 0xffffff1f, v6
	s_and_b32 s18, s18, 0x1e0
	v_or_b32_e32 v2, v6, v2
	v_or_b32_e32 v6, s18, v2
	v_readfirstlane_b32 s18, v28
	v_readfirstlane_b32 s19, v29
	s_nop 4
	global_store_dwordx4 v35, v[6:9], s[18:19]
	global_store_dwordx4 v35, v[14:17], s[18:19] offset:16
	global_store_dwordx4 v35, v[18:21], s[18:19] offset:32
	;; [unrolled: 1-line block ×3, first 2 shown]
	s_and_saveexec_b64 s[18:19], s[4:5]
	s_cbranch_execz .LBB1_215
; %bb.208:                              ;   in Loop: Header=BB1_143 Depth=1
	global_load_dwordx2 v[16:17], v3, s[10:11] offset:32 glc
	global_load_dwordx2 v[6:7], v3, s[10:11] offset:40
	v_mov_b32_e32 v14, s16
	v_mov_b32_e32 v15, s17
	s_waitcnt vmcnt(0)
	v_readfirstlane_b32 s20, v6
	v_readfirstlane_b32 s21, v7
	s_and_b64 s[20:21], s[20:21], s[16:17]
	s_mul_i32 s21, s21, 24
	s_mul_hi_u32 s22, s20, 24
	s_mul_i32 s20, s20, 24
	s_add_i32 s21, s22, s21
	v_mov_b32_e32 v2, s21
	v_add_co_u32_e32 v10, vcc, s20, v26
	v_addc_co_u32_e32 v11, vcc, v27, v2, vcc
	global_store_dwordx2 v[10:11], v[16:17], off
	s_waitcnt vmcnt(0)
	global_atomic_cmpswap_x2 v[8:9], v3, v[14:17], s[10:11] offset:32 glc
	s_waitcnt vmcnt(0)
	v_cmp_ne_u64_e32 vcc, v[8:9], v[16:17]
	s_and_saveexec_b64 s[20:21], vcc
	s_cbranch_execz .LBB1_211
; %bb.209:                              ;   in Loop: Header=BB1_143 Depth=1
	s_mov_b64 s[22:23], 0
.LBB1_210:                              ;   Parent Loop BB1_143 Depth=1
                                        ; =>  This Inner Loop Header: Depth=2
	s_sleep 1
	global_store_dwordx2 v[10:11], v[8:9], off
	v_mov_b32_e32 v6, s16
	v_mov_b32_e32 v7, s17
	s_waitcnt vmcnt(0)
	global_atomic_cmpswap_x2 v[6:7], v3, v[6:9], s[10:11] offset:32 glc
	s_waitcnt vmcnt(0)
	v_cmp_eq_u64_e32 vcc, v[6:7], v[8:9]
	v_mov_b32_e32 v9, v7
	s_or_b64 s[22:23], vcc, s[22:23]
	v_mov_b32_e32 v8, v6
	s_andn2_b64 exec, exec, s[22:23]
	s_cbranch_execnz .LBB1_210
.LBB1_211:                              ;   in Loop: Header=BB1_143 Depth=1
	s_or_b64 exec, exec, s[20:21]
	global_load_dwordx2 v[6:7], v3, s[10:11] offset:16
	s_mov_b64 s[22:23], exec
	v_mbcnt_lo_u32_b32 v2, s22, 0
	v_mbcnt_hi_u32_b32 v2, s23, v2
	v_cmp_eq_u32_e32 vcc, 0, v2
	s_and_saveexec_b64 s[20:21], vcc
	s_cbranch_execz .LBB1_213
; %bb.212:                              ;   in Loop: Header=BB1_143 Depth=1
	s_bcnt1_i32_b64 s22, s[22:23]
	v_mov_b32_e32 v2, s22
	s_waitcnt vmcnt(0)
	global_atomic_add_x2 v[6:7], v[2:3], off offset:8
.LBB1_213:                              ;   in Loop: Header=BB1_143 Depth=1
	s_or_b64 exec, exec, s[20:21]
	s_waitcnt vmcnt(0)
	global_load_dwordx2 v[8:9], v[6:7], off offset:16
	s_waitcnt vmcnt(0)
	v_cmp_eq_u64_e32 vcc, 0, v[8:9]
	s_cbranch_vccnz .LBB1_215
; %bb.214:                              ;   in Loop: Header=BB1_143 Depth=1
	global_load_dword v2, v[6:7], off offset:24
	s_waitcnt vmcnt(0)
	v_readfirstlane_b32 s20, v2
	s_and_b32 m0, s20, 0xffffff
	global_store_dwordx2 v[8:9], v[2:3], off
	s_sendmsg sendmsg(MSG_INTERRUPT)
.LBB1_215:                              ;   in Loop: Header=BB1_143 Depth=1
	s_or_b64 exec, exec, s[18:19]
	v_add_co_u32_e32 v6, vcc, v28, v35
	v_addc_co_u32_e32 v7, vcc, 0, v29, vcc
	s_branch .LBB1_219
.LBB1_216:                              ;   in Loop: Header=BB1_219 Depth=2
	s_or_b64 exec, exec, s[18:19]
	v_readfirstlane_b32 s18, v2
	s_cmp_eq_u32 s18, 0
	s_cbranch_scc1 .LBB1_218
; %bb.217:                              ;   in Loop: Header=BB1_219 Depth=2
	s_sleep 1
	s_cbranch_execnz .LBB1_219
	s_branch .LBB1_221
.LBB1_218:                              ;   in Loop: Header=BB1_143 Depth=1
	s_branch .LBB1_221
.LBB1_219:                              ;   Parent Loop BB1_143 Depth=1
                                        ; =>  This Inner Loop Header: Depth=2
	v_mov_b32_e32 v2, 1
	s_and_saveexec_b64 s[18:19], s[4:5]
	s_cbranch_execz .LBB1_216
; %bb.220:                              ;   in Loop: Header=BB1_219 Depth=2
	global_load_dword v2, v[30:31], off offset:20 glc
	s_waitcnt vmcnt(0)
	buffer_wbinvl1_vol
	v_and_b32_e32 v2, 1, v2
	s_branch .LBB1_216
.LBB1_221:                              ;   in Loop: Header=BB1_143 Depth=1
	global_load_dwordx2 v[6:7], v[6:7], off
	s_and_saveexec_b64 s[18:19], s[4:5]
	s_cbranch_execz .LBB1_142
; %bb.222:                              ;   in Loop: Header=BB1_143 Depth=1
	global_load_dwordx2 v[8:9], v3, s[10:11] offset:40
	global_load_dwordx2 v[18:19], v3, s[10:11] offset:24 glc
	global_load_dwordx2 v[10:11], v3, s[10:11]
	s_waitcnt vmcnt(2)
	v_readfirstlane_b32 s20, v8
	v_readfirstlane_b32 s21, v9
	s_add_u32 s22, s20, 1
	s_addc_u32 s23, s21, 0
	s_add_u32 s4, s22, s16
	s_addc_u32 s5, s23, s17
	s_cmp_eq_u64 s[4:5], 0
	s_cselect_b32 s5, s23, s5
	s_cselect_b32 s4, s22, s4
	s_and_b64 s[16:17], s[4:5], s[20:21]
	s_mul_i32 s17, s17, 24
	s_mul_hi_u32 s20, s16, 24
	s_mul_i32 s16, s16, 24
	s_add_i32 s17, s20, s17
	v_mov_b32_e32 v2, s17
	s_waitcnt vmcnt(0)
	v_add_co_u32_e32 v14, vcc, s16, v10
	v_addc_co_u32_e32 v15, vcc, v11, v2, vcc
	v_mov_b32_e32 v16, s4
	global_store_dwordx2 v[14:15], v[18:19], off
	v_mov_b32_e32 v17, s5
	s_waitcnt vmcnt(0)
	global_atomic_cmpswap_x2 v[10:11], v3, v[16:19], s[10:11] offset:24 glc
	s_waitcnt vmcnt(0)
	v_cmp_ne_u64_e32 vcc, v[10:11], v[18:19]
	s_and_b64 exec, exec, vcc
	s_cbranch_execz .LBB1_142
; %bb.223:                              ;   in Loop: Header=BB1_143 Depth=1
	s_mov_b64 s[16:17], 0
.LBB1_224:                              ;   Parent Loop BB1_143 Depth=1
                                        ; =>  This Inner Loop Header: Depth=2
	s_sleep 1
	global_store_dwordx2 v[14:15], v[10:11], off
	v_mov_b32_e32 v8, s4
	v_mov_b32_e32 v9, s5
	s_waitcnt vmcnt(0)
	global_atomic_cmpswap_x2 v[8:9], v3, v[8:11], s[10:11] offset:24 glc
	s_waitcnt vmcnt(0)
	v_cmp_eq_u64_e32 vcc, v[8:9], v[10:11]
	v_mov_b32_e32 v11, v9
	s_or_b64 s[16:17], vcc, s[16:17]
	v_mov_b32_e32 v10, v8
	s_andn2_b64 exec, exec, s[16:17]
	s_cbranch_execnz .LBB1_224
	s_branch .LBB1_142
.LBB1_225:
                                        ; implicit-def: $vgpr6_vgpr7
	s_cbranch_execnz .LBB1_227
	s_branch .LBB1_253
.LBB1_226:
	s_branch .LBB1_253
.LBB1_227:
	v_readfirstlane_b32 s4, v34
	v_mov_b32_e32 v10, 0
	v_mov_b32_e32 v11, 0
	v_cmp_eq_u32_e64 s[4:5], s4, v34
	s_and_saveexec_b64 s[6:7], s[4:5]
	s_cbranch_execz .LBB1_233
; %bb.228:
	v_mov_b32_e32 v2, 0
	global_load_dwordx2 v[8:9], v2, s[10:11] offset:24 glc
	s_waitcnt vmcnt(0)
	buffer_wbinvl1_vol
	global_load_dwordx2 v[6:7], v2, s[10:11] offset:40
	global_load_dwordx2 v[10:11], v2, s[10:11]
	s_waitcnt vmcnt(1)
	v_and_b32_e32 v3, v6, v8
	v_and_b32_e32 v6, v7, v9
	v_mul_lo_u32 v6, v6, 24
	v_mul_hi_u32 v7, v3, 24
	v_mul_lo_u32 v3, v3, 24
	v_add_u32_e32 v7, v7, v6
	s_waitcnt vmcnt(0)
	v_add_co_u32_e32 v6, vcc, v10, v3
	v_addc_co_u32_e32 v7, vcc, v11, v7, vcc
	global_load_dwordx2 v[6:7], v[6:7], off glc
	s_waitcnt vmcnt(0)
	global_atomic_cmpswap_x2 v[10:11], v2, v[6:9], s[10:11] offset:24 glc
	s_waitcnt vmcnt(0)
	buffer_wbinvl1_vol
	v_cmp_ne_u64_e32 vcc, v[10:11], v[8:9]
	s_and_saveexec_b64 s[12:13], vcc
	s_cbranch_execz .LBB1_232
; %bb.229:
	s_mov_b64 s[14:15], 0
.LBB1_230:                              ; =>This Inner Loop Header: Depth=1
	s_sleep 1
	global_load_dwordx2 v[6:7], v2, s[10:11] offset:40
	global_load_dwordx2 v[12:13], v2, s[10:11]
	v_mov_b32_e32 v8, v10
	v_mov_b32_e32 v9, v11
	s_waitcnt vmcnt(1)
	v_and_b32_e32 v3, v6, v8
	s_waitcnt vmcnt(0)
	v_mad_u64_u32 v[10:11], s[16:17], v3, 24, v[12:13]
	v_and_b32_e32 v6, v7, v9
	v_mov_b32_e32 v3, v11
	v_mad_u64_u32 v[6:7], s[16:17], v6, 24, v[3:4]
	v_mov_b32_e32 v11, v6
	global_load_dwordx2 v[6:7], v[10:11], off glc
	s_waitcnt vmcnt(0)
	global_atomic_cmpswap_x2 v[10:11], v2, v[6:9], s[10:11] offset:24 glc
	s_waitcnt vmcnt(0)
	buffer_wbinvl1_vol
	v_cmp_eq_u64_e32 vcc, v[10:11], v[8:9]
	s_or_b64 s[14:15], vcc, s[14:15]
	s_andn2_b64 exec, exec, s[14:15]
	s_cbranch_execnz .LBB1_230
; %bb.231:
	s_or_b64 exec, exec, s[14:15]
.LBB1_232:
	s_or_b64 exec, exec, s[12:13]
.LBB1_233:
	s_or_b64 exec, exec, s[6:7]
	v_mov_b32_e32 v2, 0
	global_load_dwordx2 v[12:13], v2, s[10:11] offset:40
	global_load_dwordx4 v[6:9], v2, s[10:11]
	v_readfirstlane_b32 s7, v11
	v_readfirstlane_b32 s6, v10
	s_mov_b64 s[12:13], exec
	s_waitcnt vmcnt(1)
	v_readfirstlane_b32 s14, v12
	v_readfirstlane_b32 s15, v13
	s_and_b64 s[14:15], s[14:15], s[6:7]
	s_mul_i32 s16, s15, 24
	s_mul_hi_u32 s17, s14, 24
	s_mul_i32 s18, s14, 24
	s_add_i32 s16, s17, s16
	v_mov_b32_e32 v3, s16
	s_waitcnt vmcnt(0)
	v_add_co_u32_e32 v10, vcc, s18, v6
	v_addc_co_u32_e32 v11, vcc, v7, v3, vcc
	s_and_saveexec_b64 s[16:17], s[4:5]
	s_cbranch_execz .LBB1_235
; %bb.234:
	v_mov_b32_e32 v12, s12
	v_mov_b32_e32 v13, s13
	v_mov_b32_e32 v14, 2
	v_mov_b32_e32 v15, 1
	global_store_dwordx4 v[10:11], v[12:15], off offset:8
.LBB1_235:
	s_or_b64 exec, exec, s[16:17]
	s_lshl_b64 s[12:13], s[14:15], 12
	v_mov_b32_e32 v3, s13
	v_add_co_u32_e32 v12, vcc, s12, v8
	v_addc_co_u32_e32 v13, vcc, v9, v3, vcc
	s_movk_i32 s12, 0xff1f
	v_and_or_b32 v0, v0, s12, 32
	s_mov_b32 s12, 0
	v_mov_b32_e32 v3, v2
	v_readfirstlane_b32 s16, v12
	v_readfirstlane_b32 s17, v13
	v_add_co_u32_e32 v8, vcc, v12, v35
	s_mov_b32 s13, s12
	s_mov_b32 s14, s12
	;; [unrolled: 1-line block ×3, first 2 shown]
	s_nop 0
	global_store_dwordx4 v35, v[0:3], s[16:17]
	v_addc_co_u32_e32 v9, vcc, 0, v13, vcc
	v_mov_b32_e32 v0, s12
	v_mov_b32_e32 v1, s13
	;; [unrolled: 1-line block ×4, first 2 shown]
	global_store_dwordx4 v35, v[0:3], s[16:17] offset:16
	global_store_dwordx4 v35, v[0:3], s[16:17] offset:32
	;; [unrolled: 1-line block ×3, first 2 shown]
	s_and_saveexec_b64 s[12:13], s[4:5]
	s_cbranch_execz .LBB1_243
; %bb.236:
	v_mov_b32_e32 v12, 0
	global_load_dwordx2 v[15:16], v12, s[10:11] offset:32 glc
	global_load_dwordx2 v[0:1], v12, s[10:11] offset:40
	v_mov_b32_e32 v13, s6
	v_mov_b32_e32 v14, s7
	s_waitcnt vmcnt(0)
	v_readfirstlane_b32 s14, v0
	v_readfirstlane_b32 s15, v1
	s_and_b64 s[14:15], s[14:15], s[6:7]
	s_mul_i32 s15, s15, 24
	s_mul_hi_u32 s16, s14, 24
	s_mul_i32 s14, s14, 24
	s_add_i32 s15, s16, s15
	v_mov_b32_e32 v0, s15
	v_add_co_u32_e32 v6, vcc, s14, v6
	v_addc_co_u32_e32 v7, vcc, v7, v0, vcc
	global_store_dwordx2 v[6:7], v[15:16], off
	s_waitcnt vmcnt(0)
	global_atomic_cmpswap_x2 v[2:3], v12, v[13:16], s[10:11] offset:32 glc
	s_waitcnt vmcnt(0)
	v_cmp_ne_u64_e32 vcc, v[2:3], v[15:16]
	s_and_saveexec_b64 s[14:15], vcc
	s_cbranch_execz .LBB1_239
; %bb.237:
	s_mov_b64 s[16:17], 0
.LBB1_238:                              ; =>This Inner Loop Header: Depth=1
	s_sleep 1
	global_store_dwordx2 v[6:7], v[2:3], off
	v_mov_b32_e32 v0, s6
	v_mov_b32_e32 v1, s7
	s_waitcnt vmcnt(0)
	global_atomic_cmpswap_x2 v[0:1], v12, v[0:3], s[10:11] offset:32 glc
	s_waitcnt vmcnt(0)
	v_cmp_eq_u64_e32 vcc, v[0:1], v[2:3]
	v_mov_b32_e32 v3, v1
	s_or_b64 s[16:17], vcc, s[16:17]
	v_mov_b32_e32 v2, v0
	s_andn2_b64 exec, exec, s[16:17]
	s_cbranch_execnz .LBB1_238
.LBB1_239:
	s_or_b64 exec, exec, s[14:15]
	v_mov_b32_e32 v3, 0
	global_load_dwordx2 v[0:1], v3, s[10:11] offset:16
	s_mov_b64 s[14:15], exec
	v_mbcnt_lo_u32_b32 v2, s14, 0
	v_mbcnt_hi_u32_b32 v2, s15, v2
	v_cmp_eq_u32_e32 vcc, 0, v2
	s_and_saveexec_b64 s[16:17], vcc
	s_cbranch_execz .LBB1_241
; %bb.240:
	s_bcnt1_i32_b64 s14, s[14:15]
	v_mov_b32_e32 v2, s14
	s_waitcnt vmcnt(0)
	global_atomic_add_x2 v[0:1], v[2:3], off offset:8
.LBB1_241:
	s_or_b64 exec, exec, s[16:17]
	s_waitcnt vmcnt(0)
	global_load_dwordx2 v[2:3], v[0:1], off offset:16
	s_waitcnt vmcnt(0)
	v_cmp_eq_u64_e32 vcc, 0, v[2:3]
	s_cbranch_vccnz .LBB1_243
; %bb.242:
	global_load_dword v0, v[0:1], off offset:24
	v_mov_b32_e32 v1, 0
	s_waitcnt vmcnt(0)
	v_readfirstlane_b32 s14, v0
	s_and_b32 m0, s14, 0xffffff
	global_store_dwordx2 v[2:3], v[0:1], off
	s_sendmsg sendmsg(MSG_INTERRUPT)
.LBB1_243:
	s_or_b64 exec, exec, s[12:13]
	s_branch .LBB1_247
.LBB1_244:                              ;   in Loop: Header=BB1_247 Depth=1
	s_or_b64 exec, exec, s[12:13]
	v_readfirstlane_b32 s12, v0
	s_cmp_eq_u32 s12, 0
	s_cbranch_scc1 .LBB1_246
; %bb.245:                              ;   in Loop: Header=BB1_247 Depth=1
	s_sleep 1
	s_cbranch_execnz .LBB1_247
	s_branch .LBB1_249
.LBB1_246:
	s_branch .LBB1_249
.LBB1_247:                              ; =>This Inner Loop Header: Depth=1
	v_mov_b32_e32 v0, 1
	s_and_saveexec_b64 s[12:13], s[4:5]
	s_cbranch_execz .LBB1_244
; %bb.248:                              ;   in Loop: Header=BB1_247 Depth=1
	global_load_dword v0, v[10:11], off offset:20 glc
	s_waitcnt vmcnt(0)
	buffer_wbinvl1_vol
	v_and_b32_e32 v0, 1, v0
	s_branch .LBB1_244
.LBB1_249:
	global_load_dwordx2 v[6:7], v[8:9], off
	s_and_saveexec_b64 s[12:13], s[4:5]
	s_cbranch_execz .LBB1_252
; %bb.250:
	v_mov_b32_e32 v10, 0
	global_load_dwordx2 v[0:1], v10, s[10:11] offset:40
	global_load_dwordx2 v[13:14], v10, s[10:11] offset:24 glc
	global_load_dwordx2 v[2:3], v10, s[10:11]
	s_waitcnt vmcnt(2)
	v_readfirstlane_b32 s14, v0
	v_readfirstlane_b32 s15, v1
	s_add_u32 s16, s14, 1
	s_addc_u32 s17, s15, 0
	s_add_u32 s4, s16, s6
	s_addc_u32 s5, s17, s7
	s_cmp_eq_u64 s[4:5], 0
	s_cselect_b32 s5, s17, s5
	s_cselect_b32 s4, s16, s4
	s_and_b64 s[6:7], s[4:5], s[14:15]
	s_mul_i32 s7, s7, 24
	s_mul_hi_u32 s14, s6, 24
	s_mul_i32 s6, s6, 24
	s_add_i32 s7, s14, s7
	v_mov_b32_e32 v0, s7
	s_waitcnt vmcnt(0)
	v_add_co_u32_e32 v8, vcc, s6, v2
	v_addc_co_u32_e32 v9, vcc, v3, v0, vcc
	v_mov_b32_e32 v11, s4
	global_store_dwordx2 v[8:9], v[13:14], off
	v_mov_b32_e32 v12, s5
	s_waitcnt vmcnt(0)
	global_atomic_cmpswap_x2 v[2:3], v10, v[11:14], s[10:11] offset:24 glc
	s_mov_b64 s[6:7], 0
	s_waitcnt vmcnt(0)
	v_cmp_ne_u64_e32 vcc, v[2:3], v[13:14]
	s_and_b64 exec, exec, vcc
	s_cbranch_execz .LBB1_252
.LBB1_251:                              ; =>This Inner Loop Header: Depth=1
	s_sleep 1
	global_store_dwordx2 v[8:9], v[2:3], off
	v_mov_b32_e32 v0, s4
	v_mov_b32_e32 v1, s5
	s_waitcnt vmcnt(0)
	global_atomic_cmpswap_x2 v[0:1], v10, v[0:3], s[10:11] offset:24 glc
	s_waitcnt vmcnt(0)
	v_cmp_eq_u64_e32 vcc, v[0:1], v[2:3]
	v_mov_b32_e32 v3, v1
	s_or_b64 s[6:7], vcc, s[6:7]
	v_mov_b32_e32 v2, v0
	s_andn2_b64 exec, exec, s[6:7]
	s_cbranch_execnz .LBB1_251
.LBB1_252:
	s_or_b64 exec, exec, s[12:13]
.LBB1_253:
	v_readfirstlane_b32 s4, v34
	v_mov_b32_e32 v10, 0
	v_mov_b32_e32 v11, 0
	v_cmp_eq_u32_e64 s[4:5], s4, v34
	s_and_saveexec_b64 s[6:7], s[4:5]
	s_cbranch_execz .LBB1_259
; %bb.254:
	s_waitcnt vmcnt(0)
	v_mov_b32_e32 v0, 0
	global_load_dwordx2 v[12:13], v0, s[10:11] offset:24 glc
	s_waitcnt vmcnt(0)
	buffer_wbinvl1_vol
	global_load_dwordx2 v[1:2], v0, s[10:11] offset:40
	global_load_dwordx2 v[8:9], v0, s[10:11]
	s_waitcnt vmcnt(1)
	v_and_b32_e32 v1, v1, v12
	v_and_b32_e32 v2, v2, v13
	v_mul_lo_u32 v2, v2, 24
	v_mul_hi_u32 v3, v1, 24
	v_mul_lo_u32 v1, v1, 24
	v_add_u32_e32 v2, v3, v2
	s_waitcnt vmcnt(0)
	v_add_co_u32_e32 v1, vcc, v8, v1
	v_addc_co_u32_e32 v2, vcc, v9, v2, vcc
	global_load_dwordx2 v[10:11], v[1:2], off glc
	s_waitcnt vmcnt(0)
	global_atomic_cmpswap_x2 v[10:11], v0, v[10:13], s[10:11] offset:24 glc
	s_waitcnt vmcnt(0)
	buffer_wbinvl1_vol
	v_cmp_ne_u64_e32 vcc, v[10:11], v[12:13]
	s_and_saveexec_b64 s[12:13], vcc
	s_cbranch_execz .LBB1_258
; %bb.255:
	s_mov_b64 s[14:15], 0
.LBB1_256:                              ; =>This Inner Loop Header: Depth=1
	s_sleep 1
	global_load_dwordx2 v[1:2], v0, s[10:11] offset:40
	global_load_dwordx2 v[8:9], v0, s[10:11]
	v_mov_b32_e32 v13, v11
	v_mov_b32_e32 v12, v10
	s_waitcnt vmcnt(1)
	v_and_b32_e32 v1, v1, v12
	s_waitcnt vmcnt(0)
	v_mad_u64_u32 v[8:9], s[16:17], v1, 24, v[8:9]
	v_and_b32_e32 v2, v2, v13
	v_mov_b32_e32 v1, v9
	v_mad_u64_u32 v[1:2], s[16:17], v2, 24, v[1:2]
	v_mov_b32_e32 v9, v1
	global_load_dwordx2 v[10:11], v[8:9], off glc
	s_waitcnt vmcnt(0)
	global_atomic_cmpswap_x2 v[10:11], v0, v[10:13], s[10:11] offset:24 glc
	s_waitcnt vmcnt(0)
	buffer_wbinvl1_vol
	v_cmp_eq_u64_e32 vcc, v[10:11], v[12:13]
	s_or_b64 s[14:15], vcc, s[14:15]
	s_andn2_b64 exec, exec, s[14:15]
	s_cbranch_execnz .LBB1_256
; %bb.257:
	s_or_b64 exec, exec, s[14:15]
.LBB1_258:
	s_or_b64 exec, exec, s[12:13]
.LBB1_259:
	s_or_b64 exec, exec, s[6:7]
	v_mov_b32_e32 v9, 0
	global_load_dwordx2 v[12:13], v9, s[10:11] offset:40
	global_load_dwordx4 v[0:3], v9, s[10:11]
	v_readfirstlane_b32 s7, v11
	v_readfirstlane_b32 s6, v10
	s_mov_b64 s[12:13], exec
	s_waitcnt vmcnt(1)
	v_readfirstlane_b32 s14, v12
	v_readfirstlane_b32 s15, v13
	s_and_b64 s[14:15], s[14:15], s[6:7]
	s_mul_i32 s16, s15, 24
	s_mul_hi_u32 s17, s14, 24
	s_mul_i32 s18, s14, 24
	s_add_i32 s16, s17, s16
	v_mov_b32_e32 v8, s16
	s_waitcnt vmcnt(0)
	v_add_co_u32_e32 v10, vcc, s18, v0
	v_addc_co_u32_e32 v11, vcc, v1, v8, vcc
	s_and_saveexec_b64 s[16:17], s[4:5]
	s_cbranch_execz .LBB1_261
; %bb.260:
	v_mov_b32_e32 v12, s12
	v_mov_b32_e32 v13, s13
	v_mov_b32_e32 v14, 2
	v_mov_b32_e32 v15, 1
	global_store_dwordx4 v[10:11], v[12:15], off offset:8
.LBB1_261:
	s_or_b64 exec, exec, s[16:17]
	s_lshl_b64 s[12:13], s[14:15], 12
	v_mov_b32_e32 v8, s13
	v_add_co_u32_e32 v2, vcc, s12, v2
	v_addc_co_u32_e32 v3, vcc, v3, v8, vcc
	s_movk_i32 s12, 0xff1f
	v_and_or_b32 v6, v6, s12, 32
	s_mov_b32 s12, 0
	v_mov_b32_e32 v8, 0x331
	v_readfirstlane_b32 s16, v2
	v_readfirstlane_b32 s17, v3
	v_add_co_u32_e32 v12, vcc, v2, v35
	s_mov_b32 s13, s12
	s_mov_b32 s14, s12
	;; [unrolled: 1-line block ×3, first 2 shown]
	s_nop 0
	global_store_dwordx4 v35, v[6:9], s[16:17]
	v_addc_co_u32_e32 v13, vcc, 0, v3, vcc
	v_mov_b32_e32 v6, s12
	v_mov_b32_e32 v7, s13
	;; [unrolled: 1-line block ×4, first 2 shown]
	global_store_dwordx4 v35, v[6:9], s[16:17] offset:16
	global_store_dwordx4 v35, v[6:9], s[16:17] offset:32
	;; [unrolled: 1-line block ×3, first 2 shown]
	s_and_saveexec_b64 s[12:13], s[4:5]
	s_cbranch_execz .LBB1_269
; %bb.262:
	v_mov_b32_e32 v8, 0
	global_load_dwordx2 v[16:17], v8, s[10:11] offset:32 glc
	global_load_dwordx2 v[2:3], v8, s[10:11] offset:40
	v_mov_b32_e32 v14, s6
	v_mov_b32_e32 v15, s7
	s_waitcnt vmcnt(0)
	v_readfirstlane_b32 s14, v2
	v_readfirstlane_b32 s15, v3
	s_and_b64 s[14:15], s[14:15], s[6:7]
	s_mul_i32 s15, s15, 24
	s_mul_hi_u32 s16, s14, 24
	s_mul_i32 s14, s14, 24
	s_add_i32 s15, s16, s15
	v_mov_b32_e32 v2, s15
	v_add_co_u32_e32 v6, vcc, s14, v0
	v_addc_co_u32_e32 v7, vcc, v1, v2, vcc
	global_store_dwordx2 v[6:7], v[16:17], off
	s_waitcnt vmcnt(0)
	global_atomic_cmpswap_x2 v[2:3], v8, v[14:17], s[10:11] offset:32 glc
	s_waitcnt vmcnt(0)
	v_cmp_ne_u64_e32 vcc, v[2:3], v[16:17]
	s_and_saveexec_b64 s[14:15], vcc
	s_cbranch_execz .LBB1_265
; %bb.263:
	s_mov_b64 s[16:17], 0
.LBB1_264:                              ; =>This Inner Loop Header: Depth=1
	s_sleep 1
	global_store_dwordx2 v[6:7], v[2:3], off
	v_mov_b32_e32 v0, s6
	v_mov_b32_e32 v1, s7
	s_waitcnt vmcnt(0)
	global_atomic_cmpswap_x2 v[0:1], v8, v[0:3], s[10:11] offset:32 glc
	s_waitcnt vmcnt(0)
	v_cmp_eq_u64_e32 vcc, v[0:1], v[2:3]
	v_mov_b32_e32 v3, v1
	s_or_b64 s[16:17], vcc, s[16:17]
	v_mov_b32_e32 v2, v0
	s_andn2_b64 exec, exec, s[16:17]
	s_cbranch_execnz .LBB1_264
.LBB1_265:
	s_or_b64 exec, exec, s[14:15]
	v_mov_b32_e32 v3, 0
	global_load_dwordx2 v[0:1], v3, s[10:11] offset:16
	s_mov_b64 s[14:15], exec
	v_mbcnt_lo_u32_b32 v2, s14, 0
	v_mbcnt_hi_u32_b32 v2, s15, v2
	v_cmp_eq_u32_e32 vcc, 0, v2
	s_and_saveexec_b64 s[16:17], vcc
	s_cbranch_execz .LBB1_267
; %bb.266:
	s_bcnt1_i32_b64 s14, s[14:15]
	v_mov_b32_e32 v2, s14
	s_waitcnt vmcnt(0)
	global_atomic_add_x2 v[0:1], v[2:3], off offset:8
.LBB1_267:
	s_or_b64 exec, exec, s[16:17]
	s_waitcnt vmcnt(0)
	global_load_dwordx2 v[2:3], v[0:1], off offset:16
	s_waitcnt vmcnt(0)
	v_cmp_eq_u64_e32 vcc, 0, v[2:3]
	s_cbranch_vccnz .LBB1_269
; %bb.268:
	global_load_dword v0, v[0:1], off offset:24
	v_mov_b32_e32 v1, 0
	s_waitcnt vmcnt(0)
	v_readfirstlane_b32 s14, v0
	s_and_b32 m0, s14, 0xffffff
	global_store_dwordx2 v[2:3], v[0:1], off
	s_sendmsg sendmsg(MSG_INTERRUPT)
.LBB1_269:
	s_or_b64 exec, exec, s[12:13]
	s_branch .LBB1_273
.LBB1_270:                              ;   in Loop: Header=BB1_273 Depth=1
	s_or_b64 exec, exec, s[12:13]
	v_readfirstlane_b32 s12, v0
	s_cmp_eq_u32 s12, 0
	s_cbranch_scc1 .LBB1_272
; %bb.271:                              ;   in Loop: Header=BB1_273 Depth=1
	s_sleep 1
	s_cbranch_execnz .LBB1_273
	s_branch .LBB1_275
.LBB1_272:
	s_branch .LBB1_275
.LBB1_273:                              ; =>This Inner Loop Header: Depth=1
	v_mov_b32_e32 v0, 1
	s_and_saveexec_b64 s[12:13], s[4:5]
	s_cbranch_execz .LBB1_270
; %bb.274:                              ;   in Loop: Header=BB1_273 Depth=1
	global_load_dword v0, v[10:11], off offset:20 glc
	s_waitcnt vmcnt(0)
	buffer_wbinvl1_vol
	v_and_b32_e32 v0, 1, v0
	s_branch .LBB1_270
.LBB1_275:
	global_load_dwordx2 v[0:1], v[12:13], off
	s_and_saveexec_b64 s[12:13], s[4:5]
	s_cbranch_execz .LBB1_278
; %bb.276:
	v_mov_b32_e32 v10, 0
	global_load_dwordx2 v[2:3], v10, s[10:11] offset:40
	global_load_dwordx2 v[13:14], v10, s[10:11] offset:24 glc
	global_load_dwordx2 v[6:7], v10, s[10:11]
	s_waitcnt vmcnt(2)
	v_readfirstlane_b32 s14, v2
	v_readfirstlane_b32 s15, v3
	s_add_u32 s16, s14, 1
	s_addc_u32 s17, s15, 0
	s_add_u32 s4, s16, s6
	s_addc_u32 s5, s17, s7
	s_cmp_eq_u64 s[4:5], 0
	s_cselect_b32 s5, s17, s5
	s_cselect_b32 s4, s16, s4
	s_and_b64 s[6:7], s[4:5], s[14:15]
	s_mul_i32 s7, s7, 24
	s_mul_hi_u32 s14, s6, 24
	s_mul_i32 s6, s6, 24
	s_add_i32 s7, s14, s7
	v_mov_b32_e32 v3, s7
	s_waitcnt vmcnt(0)
	v_add_co_u32_e32 v2, vcc, s6, v6
	v_addc_co_u32_e32 v3, vcc, v7, v3, vcc
	v_mov_b32_e32 v11, s4
	global_store_dwordx2 v[2:3], v[13:14], off
	v_mov_b32_e32 v12, s5
	s_waitcnt vmcnt(0)
	global_atomic_cmpswap_x2 v[8:9], v10, v[11:14], s[10:11] offset:24 glc
	s_mov_b64 s[6:7], 0
	s_waitcnt vmcnt(0)
	v_cmp_ne_u64_e32 vcc, v[8:9], v[13:14]
	s_and_b64 exec, exec, vcc
	s_cbranch_execz .LBB1_278
.LBB1_277:                              ; =>This Inner Loop Header: Depth=1
	s_sleep 1
	global_store_dwordx2 v[2:3], v[8:9], off
	v_mov_b32_e32 v6, s4
	v_mov_b32_e32 v7, s5
	s_waitcnt vmcnt(0)
	global_atomic_cmpswap_x2 v[6:7], v10, v[6:9], s[10:11] offset:24 glc
	s_waitcnt vmcnt(0)
	v_cmp_eq_u64_e32 vcc, v[6:7], v[8:9]
	v_mov_b32_e32 v9, v7
	s_or_b64 s[6:7], vcc, s[6:7]
	v_mov_b32_e32 v8, v6
	s_andn2_b64 exec, exec, s[6:7]
	s_cbranch_execnz .LBB1_277
.LBB1_278:
	s_or_b64 exec, exec, s[12:13]
	v_mov_b32_e32 v7, v5
	s_mov_b64 s[4:5], 0
	v_mov_b32_e32 v6, v4
.LBB1_279:                              ; =>This Inner Loop Header: Depth=1
	global_load_ubyte v8, v[6:7], off
	v_add_co_u32_e32 v2, vcc, 1, v6
	v_addc_co_u32_e32 v3, vcc, 0, v7, vcc
	v_mov_b32_e32 v7, v3
	v_mov_b32_e32 v6, v2
	s_waitcnt vmcnt(0)
	v_cmp_eq_u16_e32 vcc, 0, v8
	s_or_b64 s[4:5], vcc, s[4:5]
	s_andn2_b64 exec, exec, s[4:5]
	s_cbranch_execnz .LBB1_279
; %bb.280:
	s_or_b64 exec, exec, s[4:5]
	v_cmp_ne_u64_e32 vcc, 0, v[4:5]
	s_mov_b64 s[12:13], 0
	s_and_saveexec_b64 s[4:5], vcc
	s_xor_b64 s[6:7], exec, s[4:5]
	s_cbranch_execz .LBB1_366
; %bb.281:
	v_sub_u32_e32 v26, v2, v4
	v_ashrrev_i32_e32 v27, 31, v26
	v_and_b32_e32 v36, 2, v0
	v_mov_b32_e32 v29, 0
	v_and_b32_e32 v0, -3, v0
	s_mov_b32 s22, 0
	s_movk_i32 s23, 0x1e0
	v_mov_b32_e32 v8, 2
	v_mov_b32_e32 v9, 1
	s_branch .LBB1_283
.LBB1_282:                              ;   in Loop: Header=BB1_283 Depth=1
	s_or_b64 exec, exec, s[16:17]
	v_sub_co_u32_e32 v26, vcc, v26, v30
	v_subb_co_u32_e32 v27, vcc, v27, v31, vcc
	v_cmp_eq_u64_e32 vcc, 0, v[26:27]
	s_or_b64 s[12:13], vcc, s[12:13]
	v_add_co_u32_e32 v4, vcc, v4, v30
	v_addc_co_u32_e32 v5, vcc, v5, v31, vcc
	s_andn2_b64 exec, exec, s[12:13]
	s_cbranch_execz .LBB1_365
.LBB1_283:                              ; =>This Loop Header: Depth=1
                                        ;     Child Loop BB1_286 Depth 2
                                        ;     Child Loop BB1_294 Depth 2
	;; [unrolled: 1-line block ×11, first 2 shown]
	v_cmp_gt_u64_e32 vcc, 56, v[26:27]
	v_add_co_u32_e64 v12, s[4:5], 8, v4
	v_cndmask_b32_e32 v31, 0, v27, vcc
	v_cndmask_b32_e32 v30, 56, v26, vcc
	v_cmp_gt_u64_e32 vcc, 8, v[26:27]
	v_addc_co_u32_e64 v13, s[4:5], 0, v5, s[4:5]
	s_and_saveexec_b64 s[4:5], vcc
	s_xor_b64 s[4:5], exec, s[4:5]
	s_cbranch_execz .LBB1_289
; %bb.284:                              ;   in Loop: Header=BB1_283 Depth=1
	v_mov_b32_e32 v2, 0
	v_cmp_ne_u64_e32 vcc, 0, v[26:27]
	v_mov_b32_e32 v3, 0
	s_and_saveexec_b64 s[14:15], vcc
	s_cbranch_execz .LBB1_288
; %bb.285:                              ;   in Loop: Header=BB1_283 Depth=1
	v_lshlrev_b64 v[6:7], 3, v[30:31]
	v_mov_b32_e32 v2, 0
	v_mov_b32_e32 v11, v5
	s_mov_b64 s[16:17], 0
	v_mov_b32_e32 v3, 0
	v_mov_b32_e32 v10, v4
	s_mov_b64 s[18:19], 0
.LBB1_286:                              ;   Parent Loop BB1_283 Depth=1
                                        ; =>  This Inner Loop Header: Depth=2
	global_load_ubyte v7, v[10:11], off
	v_mov_b32_e32 v13, s22
	v_add_co_u32_e32 v10, vcc, 1, v10
	v_addc_co_u32_e32 v11, vcc, 0, v11, vcc
	s_waitcnt vmcnt(0)
	v_and_b32_e32 v12, 0xffff, v7
	v_lshlrev_b64 v[12:13], s18, v[12:13]
	s_add_u32 s18, s18, 8
	s_addc_u32 s19, s19, 0
	v_cmp_eq_u32_e32 vcc, s18, v6
	v_or_b32_e32 v3, v13, v3
	s_or_b64 s[16:17], vcc, s[16:17]
	v_or_b32_e32 v2, v12, v2
	s_andn2_b64 exec, exec, s[16:17]
	s_cbranch_execnz .LBB1_286
; %bb.287:                              ;   in Loop: Header=BB1_283 Depth=1
	s_or_b64 exec, exec, s[16:17]
.LBB1_288:                              ;   in Loop: Header=BB1_283 Depth=1
	s_or_b64 exec, exec, s[14:15]
	v_mov_b32_e32 v13, v5
	v_mov_b32_e32 v12, v4
.LBB1_289:                              ;   in Loop: Header=BB1_283 Depth=1
	s_or_saveexec_b64 s[4:5], s[4:5]
	v_mov_b32_e32 v14, 0
	s_xor_b64 exec, exec, s[4:5]
	s_cbranch_execz .LBB1_291
; %bb.290:                              ;   in Loop: Header=BB1_283 Depth=1
	global_load_dwordx2 v[2:3], v[4:5], off
	v_add_u32_e32 v14, -8, v30
.LBB1_291:                              ;   in Loop: Header=BB1_283 Depth=1
	s_or_b64 exec, exec, s[4:5]
	v_add_co_u32_e64 v6, s[4:5], 8, v12
	v_cmp_gt_u32_e32 vcc, 8, v14
	v_addc_co_u32_e64 v7, s[4:5], 0, v13, s[4:5]
                                        ; implicit-def: $vgpr10_vgpr11
	s_and_saveexec_b64 s[4:5], vcc
	s_xor_b64 s[4:5], exec, s[4:5]
	s_cbranch_execz .LBB1_297
; %bb.292:                              ;   in Loop: Header=BB1_283 Depth=1
	v_mov_b32_e32 v10, 0
	v_mov_b32_e32 v11, 0
	v_cmp_ne_u32_e32 vcc, 0, v14
	s_and_saveexec_b64 s[14:15], vcc
	s_cbranch_execz .LBB1_296
; %bb.293:                              ;   in Loop: Header=BB1_283 Depth=1
	v_mov_b32_e32 v10, 0
	s_mov_b64 s[16:17], 0
	v_mov_b32_e32 v11, 0
	s_mov_b64 s[18:19], 0
	s_mov_b64 s[20:21], 0
.LBB1_294:                              ;   Parent Loop BB1_283 Depth=1
                                        ; =>  This Inner Loop Header: Depth=2
	v_mov_b32_e32 v7, s21
	v_add_co_u32_e32 v6, vcc, s20, v12
	v_addc_co_u32_e32 v7, vcc, v13, v7, vcc
	global_load_ubyte v6, v[6:7], off
	s_add_u32 s20, s20, 1
	v_mov_b32_e32 v7, s22
	s_addc_u32 s21, s21, 0
	v_cmp_eq_u32_e32 vcc, s20, v14
	s_waitcnt vmcnt(0)
	v_and_b32_e32 v6, 0xffff, v6
	v_lshlrev_b64 v[6:7], s18, v[6:7]
	s_add_u32 s18, s18, 8
	s_addc_u32 s19, s19, 0
	v_or_b32_e32 v11, v7, v11
	s_or_b64 s[16:17], vcc, s[16:17]
	v_or_b32_e32 v10, v6, v10
	s_andn2_b64 exec, exec, s[16:17]
	s_cbranch_execnz .LBB1_294
; %bb.295:                              ;   in Loop: Header=BB1_283 Depth=1
	s_or_b64 exec, exec, s[16:17]
.LBB1_296:                              ;   in Loop: Header=BB1_283 Depth=1
	s_or_b64 exec, exec, s[14:15]
	v_mov_b32_e32 v6, v12
	v_mov_b32_e32 v7, v13
                                        ; implicit-def: $vgpr14
.LBB1_297:                              ;   in Loop: Header=BB1_283 Depth=1
	s_or_saveexec_b64 s[4:5], s[4:5]
	v_mov_b32_e32 v15, 0
	s_xor_b64 exec, exec, s[4:5]
	s_cbranch_execz .LBB1_299
; %bb.298:                              ;   in Loop: Header=BB1_283 Depth=1
	global_load_dwordx2 v[10:11], v[12:13], off
	v_add_u32_e32 v15, -8, v14
.LBB1_299:                              ;   in Loop: Header=BB1_283 Depth=1
	s_or_b64 exec, exec, s[4:5]
	v_add_co_u32_e64 v16, s[4:5], 8, v6
	v_cmp_gt_u32_e32 vcc, 8, v15
	v_addc_co_u32_e64 v17, s[4:5], 0, v7, s[4:5]
	s_and_saveexec_b64 s[4:5], vcc
	s_xor_b64 s[4:5], exec, s[4:5]
	s_cbranch_execz .LBB1_305
; %bb.300:                              ;   in Loop: Header=BB1_283 Depth=1
	v_mov_b32_e32 v12, 0
	v_mov_b32_e32 v13, 0
	v_cmp_ne_u32_e32 vcc, 0, v15
	s_and_saveexec_b64 s[14:15], vcc
	s_cbranch_execz .LBB1_304
; %bb.301:                              ;   in Loop: Header=BB1_283 Depth=1
	v_mov_b32_e32 v12, 0
	s_mov_b64 s[16:17], 0
	v_mov_b32_e32 v13, 0
	s_mov_b64 s[18:19], 0
	s_mov_b64 s[20:21], 0
.LBB1_302:                              ;   Parent Loop BB1_283 Depth=1
                                        ; =>  This Inner Loop Header: Depth=2
	v_mov_b32_e32 v14, s21
	v_add_co_u32_e32 v16, vcc, s20, v6
	v_addc_co_u32_e32 v17, vcc, v7, v14, vcc
	global_load_ubyte v14, v[16:17], off
	s_add_u32 s20, s20, 1
	v_mov_b32_e32 v17, s22
	s_addc_u32 s21, s21, 0
	v_cmp_eq_u32_e32 vcc, s20, v15
	s_waitcnt vmcnt(0)
	v_and_b32_e32 v16, 0xffff, v14
	v_lshlrev_b64 v[16:17], s18, v[16:17]
	s_add_u32 s18, s18, 8
	s_addc_u32 s19, s19, 0
	v_or_b32_e32 v13, v17, v13
	s_or_b64 s[16:17], vcc, s[16:17]
	v_or_b32_e32 v12, v16, v12
	s_andn2_b64 exec, exec, s[16:17]
	s_cbranch_execnz .LBB1_302
; %bb.303:                              ;   in Loop: Header=BB1_283 Depth=1
	s_or_b64 exec, exec, s[16:17]
.LBB1_304:                              ;   in Loop: Header=BB1_283 Depth=1
	s_or_b64 exec, exec, s[14:15]
	v_mov_b32_e32 v17, v7
	v_mov_b32_e32 v16, v6
                                        ; implicit-def: $vgpr15
.LBB1_305:                              ;   in Loop: Header=BB1_283 Depth=1
	s_or_saveexec_b64 s[4:5], s[4:5]
	v_mov_b32_e32 v18, 0
	s_xor_b64 exec, exec, s[4:5]
	s_cbranch_execz .LBB1_307
; %bb.306:                              ;   in Loop: Header=BB1_283 Depth=1
	global_load_dwordx2 v[12:13], v[6:7], off
	v_add_u32_e32 v18, -8, v15
.LBB1_307:                              ;   in Loop: Header=BB1_283 Depth=1
	s_or_b64 exec, exec, s[4:5]
	v_add_co_u32_e64 v6, s[4:5], 8, v16
	v_cmp_gt_u32_e32 vcc, 8, v18
	v_addc_co_u32_e64 v7, s[4:5], 0, v17, s[4:5]
                                        ; implicit-def: $vgpr14_vgpr15
	s_and_saveexec_b64 s[4:5], vcc
	s_xor_b64 s[4:5], exec, s[4:5]
	s_cbranch_execz .LBB1_313
; %bb.308:                              ;   in Loop: Header=BB1_283 Depth=1
	v_mov_b32_e32 v14, 0
	v_mov_b32_e32 v15, 0
	v_cmp_ne_u32_e32 vcc, 0, v18
	s_and_saveexec_b64 s[14:15], vcc
	s_cbranch_execz .LBB1_312
; %bb.309:                              ;   in Loop: Header=BB1_283 Depth=1
	v_mov_b32_e32 v14, 0
	s_mov_b64 s[16:17], 0
	v_mov_b32_e32 v15, 0
	s_mov_b64 s[18:19], 0
	s_mov_b64 s[20:21], 0
.LBB1_310:                              ;   Parent Loop BB1_283 Depth=1
                                        ; =>  This Inner Loop Header: Depth=2
	v_mov_b32_e32 v7, s21
	v_add_co_u32_e32 v6, vcc, s20, v16
	v_addc_co_u32_e32 v7, vcc, v17, v7, vcc
	global_load_ubyte v6, v[6:7], off
	s_add_u32 s20, s20, 1
	v_mov_b32_e32 v7, s22
	s_addc_u32 s21, s21, 0
	v_cmp_eq_u32_e32 vcc, s20, v18
	s_waitcnt vmcnt(0)
	v_and_b32_e32 v6, 0xffff, v6
	v_lshlrev_b64 v[6:7], s18, v[6:7]
	s_add_u32 s18, s18, 8
	s_addc_u32 s19, s19, 0
	v_or_b32_e32 v15, v7, v15
	s_or_b64 s[16:17], vcc, s[16:17]
	v_or_b32_e32 v14, v6, v14
	s_andn2_b64 exec, exec, s[16:17]
	s_cbranch_execnz .LBB1_310
; %bb.311:                              ;   in Loop: Header=BB1_283 Depth=1
	s_or_b64 exec, exec, s[16:17]
.LBB1_312:                              ;   in Loop: Header=BB1_283 Depth=1
	s_or_b64 exec, exec, s[14:15]
	v_mov_b32_e32 v6, v16
	v_mov_b32_e32 v7, v17
                                        ; implicit-def: $vgpr18
.LBB1_313:                              ;   in Loop: Header=BB1_283 Depth=1
	s_or_saveexec_b64 s[4:5], s[4:5]
	v_mov_b32_e32 v19, 0
	s_xor_b64 exec, exec, s[4:5]
	s_cbranch_execz .LBB1_315
; %bb.314:                              ;   in Loop: Header=BB1_283 Depth=1
	global_load_dwordx2 v[14:15], v[16:17], off
	v_add_u32_e32 v19, -8, v18
.LBB1_315:                              ;   in Loop: Header=BB1_283 Depth=1
	s_or_b64 exec, exec, s[4:5]
	v_add_co_u32_e64 v20, s[4:5], 8, v6
	v_cmp_gt_u32_e32 vcc, 8, v19
	v_addc_co_u32_e64 v21, s[4:5], 0, v7, s[4:5]
	s_and_saveexec_b64 s[4:5], vcc
	s_xor_b64 s[4:5], exec, s[4:5]
	s_cbranch_execz .LBB1_321
; %bb.316:                              ;   in Loop: Header=BB1_283 Depth=1
	v_mov_b32_e32 v16, 0
	v_mov_b32_e32 v17, 0
	v_cmp_ne_u32_e32 vcc, 0, v19
	s_and_saveexec_b64 s[14:15], vcc
	s_cbranch_execz .LBB1_320
; %bb.317:                              ;   in Loop: Header=BB1_283 Depth=1
	v_mov_b32_e32 v16, 0
	s_mov_b64 s[16:17], 0
	v_mov_b32_e32 v17, 0
	s_mov_b64 s[18:19], 0
	s_mov_b64 s[20:21], 0
.LBB1_318:                              ;   Parent Loop BB1_283 Depth=1
                                        ; =>  This Inner Loop Header: Depth=2
	v_mov_b32_e32 v18, s21
	v_add_co_u32_e32 v20, vcc, s20, v6
	v_addc_co_u32_e32 v21, vcc, v7, v18, vcc
	global_load_ubyte v18, v[20:21], off
	s_add_u32 s20, s20, 1
	v_mov_b32_e32 v21, s22
	s_addc_u32 s21, s21, 0
	v_cmp_eq_u32_e32 vcc, s20, v19
	s_waitcnt vmcnt(0)
	v_and_b32_e32 v20, 0xffff, v18
	v_lshlrev_b64 v[20:21], s18, v[20:21]
	s_add_u32 s18, s18, 8
	s_addc_u32 s19, s19, 0
	v_or_b32_e32 v17, v21, v17
	s_or_b64 s[16:17], vcc, s[16:17]
	v_or_b32_e32 v16, v20, v16
	s_andn2_b64 exec, exec, s[16:17]
	s_cbranch_execnz .LBB1_318
; %bb.319:                              ;   in Loop: Header=BB1_283 Depth=1
	s_or_b64 exec, exec, s[16:17]
.LBB1_320:                              ;   in Loop: Header=BB1_283 Depth=1
	s_or_b64 exec, exec, s[14:15]
	v_mov_b32_e32 v21, v7
	v_mov_b32_e32 v20, v6
                                        ; implicit-def: $vgpr19
.LBB1_321:                              ;   in Loop: Header=BB1_283 Depth=1
	s_or_saveexec_b64 s[4:5], s[4:5]
	v_mov_b32_e32 v22, 0
	s_xor_b64 exec, exec, s[4:5]
	s_cbranch_execz .LBB1_323
; %bb.322:                              ;   in Loop: Header=BB1_283 Depth=1
	global_load_dwordx2 v[16:17], v[6:7], off
	v_add_u32_e32 v22, -8, v19
.LBB1_323:                              ;   in Loop: Header=BB1_283 Depth=1
	s_or_b64 exec, exec, s[4:5]
	v_add_co_u32_e64 v6, s[4:5], 8, v20
	v_cmp_gt_u32_e32 vcc, 8, v22
	v_addc_co_u32_e64 v7, s[4:5], 0, v21, s[4:5]
                                        ; implicit-def: $vgpr18_vgpr19
	s_and_saveexec_b64 s[4:5], vcc
	s_xor_b64 s[4:5], exec, s[4:5]
	s_cbranch_execz .LBB1_329
; %bb.324:                              ;   in Loop: Header=BB1_283 Depth=1
	v_mov_b32_e32 v18, 0
	v_mov_b32_e32 v19, 0
	v_cmp_ne_u32_e32 vcc, 0, v22
	s_and_saveexec_b64 s[14:15], vcc
	s_cbranch_execz .LBB1_328
; %bb.325:                              ;   in Loop: Header=BB1_283 Depth=1
	v_mov_b32_e32 v18, 0
	s_mov_b64 s[16:17], 0
	v_mov_b32_e32 v19, 0
	s_mov_b64 s[18:19], 0
	s_mov_b64 s[20:21], 0
.LBB1_326:                              ;   Parent Loop BB1_283 Depth=1
                                        ; =>  This Inner Loop Header: Depth=2
	v_mov_b32_e32 v7, s21
	v_add_co_u32_e32 v6, vcc, s20, v20
	v_addc_co_u32_e32 v7, vcc, v21, v7, vcc
	global_load_ubyte v6, v[6:7], off
	s_add_u32 s20, s20, 1
	v_mov_b32_e32 v7, s22
	s_addc_u32 s21, s21, 0
	v_cmp_eq_u32_e32 vcc, s20, v22
	s_waitcnt vmcnt(0)
	v_and_b32_e32 v6, 0xffff, v6
	v_lshlrev_b64 v[6:7], s18, v[6:7]
	s_add_u32 s18, s18, 8
	s_addc_u32 s19, s19, 0
	v_or_b32_e32 v19, v7, v19
	s_or_b64 s[16:17], vcc, s[16:17]
	v_or_b32_e32 v18, v6, v18
	s_andn2_b64 exec, exec, s[16:17]
	s_cbranch_execnz .LBB1_326
; %bb.327:                              ;   in Loop: Header=BB1_283 Depth=1
	s_or_b64 exec, exec, s[16:17]
.LBB1_328:                              ;   in Loop: Header=BB1_283 Depth=1
	s_or_b64 exec, exec, s[14:15]
	v_mov_b32_e32 v6, v20
	v_mov_b32_e32 v7, v21
                                        ; implicit-def: $vgpr22
.LBB1_329:                              ;   in Loop: Header=BB1_283 Depth=1
	s_or_saveexec_b64 s[4:5], s[4:5]
	v_mov_b32_e32 v23, 0
	s_xor_b64 exec, exec, s[4:5]
	s_cbranch_execz .LBB1_331
; %bb.330:                              ;   in Loop: Header=BB1_283 Depth=1
	global_load_dwordx2 v[18:19], v[20:21], off
	v_add_u32_e32 v23, -8, v22
.LBB1_331:                              ;   in Loop: Header=BB1_283 Depth=1
	s_or_b64 exec, exec, s[4:5]
	v_cmp_gt_u32_e32 vcc, 8, v23
	s_and_saveexec_b64 s[4:5], vcc
	s_xor_b64 s[4:5], exec, s[4:5]
	s_cbranch_execz .LBB1_337
; %bb.332:                              ;   in Loop: Header=BB1_283 Depth=1
	v_mov_b32_e32 v20, 0
	v_mov_b32_e32 v21, 0
	v_cmp_ne_u32_e32 vcc, 0, v23
	s_and_saveexec_b64 s[14:15], vcc
	s_cbranch_execz .LBB1_336
; %bb.333:                              ;   in Loop: Header=BB1_283 Depth=1
	v_mov_b32_e32 v20, 0
	s_mov_b64 s[16:17], 0
	v_mov_b32_e32 v21, 0
	s_mov_b64 s[18:19], 0
.LBB1_334:                              ;   Parent Loop BB1_283 Depth=1
                                        ; =>  This Inner Loop Header: Depth=2
	global_load_ubyte v22, v[6:7], off
	v_mov_b32_e32 v25, s22
	v_add_co_u32_e32 v6, vcc, 1, v6
	v_add_u32_e32 v23, -1, v23
	v_addc_co_u32_e32 v7, vcc, 0, v7, vcc
	v_cmp_eq_u32_e32 vcc, 0, v23
	s_waitcnt vmcnt(0)
	v_and_b32_e32 v24, 0xffff, v22
	v_lshlrev_b64 v[24:25], s18, v[24:25]
	s_add_u32 s18, s18, 8
	s_addc_u32 s19, s19, 0
	v_or_b32_e32 v21, v25, v21
	s_or_b64 s[16:17], vcc, s[16:17]
	v_or_b32_e32 v20, v24, v20
	s_andn2_b64 exec, exec, s[16:17]
	s_cbranch_execnz .LBB1_334
; %bb.335:                              ;   in Loop: Header=BB1_283 Depth=1
	s_or_b64 exec, exec, s[16:17]
.LBB1_336:                              ;   in Loop: Header=BB1_283 Depth=1
	s_or_b64 exec, exec, s[14:15]
                                        ; implicit-def: $vgpr6_vgpr7
.LBB1_337:                              ;   in Loop: Header=BB1_283 Depth=1
	s_andn2_saveexec_b64 s[4:5], s[4:5]
	s_cbranch_execz .LBB1_339
; %bb.338:                              ;   in Loop: Header=BB1_283 Depth=1
	global_load_dwordx2 v[20:21], v[6:7], off
.LBB1_339:                              ;   in Loop: Header=BB1_283 Depth=1
	s_or_b64 exec, exec, s[4:5]
	v_readfirstlane_b32 s4, v34
	v_mov_b32_e32 v6, 0
	v_mov_b32_e32 v7, 0
	v_cmp_eq_u32_e64 s[4:5], s4, v34
	s_and_saveexec_b64 s[14:15], s[4:5]
	s_cbranch_execz .LBB1_345
; %bb.340:                              ;   in Loop: Header=BB1_283 Depth=1
	global_load_dwordx2 v[24:25], v29, s[10:11] offset:24 glc
	s_waitcnt vmcnt(0)
	buffer_wbinvl1_vol
	global_load_dwordx2 v[6:7], v29, s[10:11] offset:40
	global_load_dwordx2 v[22:23], v29, s[10:11]
	s_waitcnt vmcnt(1)
	v_and_b32_e32 v6, v6, v24
	v_and_b32_e32 v7, v7, v25
	v_mul_lo_u32 v7, v7, 24
	v_mul_hi_u32 v28, v6, 24
	v_mul_lo_u32 v6, v6, 24
	v_add_u32_e32 v7, v28, v7
	s_waitcnt vmcnt(0)
	v_add_co_u32_e32 v6, vcc, v22, v6
	v_addc_co_u32_e32 v7, vcc, v23, v7, vcc
	global_load_dwordx2 v[22:23], v[6:7], off glc
	s_waitcnt vmcnt(0)
	global_atomic_cmpswap_x2 v[6:7], v29, v[22:25], s[10:11] offset:24 glc
	s_waitcnt vmcnt(0)
	buffer_wbinvl1_vol
	v_cmp_ne_u64_e32 vcc, v[6:7], v[24:25]
	s_and_saveexec_b64 s[16:17], vcc
	s_cbranch_execz .LBB1_344
; %bb.341:                              ;   in Loop: Header=BB1_283 Depth=1
	s_mov_b64 s[18:19], 0
.LBB1_342:                              ;   Parent Loop BB1_283 Depth=1
                                        ; =>  This Inner Loop Header: Depth=2
	s_sleep 1
	global_load_dwordx2 v[22:23], v29, s[10:11] offset:40
	global_load_dwordx2 v[32:33], v29, s[10:11]
	v_mov_b32_e32 v25, v7
	v_mov_b32_e32 v24, v6
	s_waitcnt vmcnt(1)
	v_and_b32_e32 v6, v22, v24
	s_waitcnt vmcnt(0)
	v_mad_u64_u32 v[6:7], s[20:21], v6, 24, v[32:33]
	v_and_b32_e32 v22, v23, v25
	v_mad_u64_u32 v[22:23], s[20:21], v22, 24, v[7:8]
	v_mov_b32_e32 v7, v22
	global_load_dwordx2 v[22:23], v[6:7], off glc
	s_waitcnt vmcnt(0)
	global_atomic_cmpswap_x2 v[6:7], v29, v[22:25], s[10:11] offset:24 glc
	s_waitcnt vmcnt(0)
	buffer_wbinvl1_vol
	v_cmp_eq_u64_e32 vcc, v[6:7], v[24:25]
	s_or_b64 s[18:19], vcc, s[18:19]
	s_andn2_b64 exec, exec, s[18:19]
	s_cbranch_execnz .LBB1_342
; %bb.343:                              ;   in Loop: Header=BB1_283 Depth=1
	s_or_b64 exec, exec, s[18:19]
.LBB1_344:                              ;   in Loop: Header=BB1_283 Depth=1
	s_or_b64 exec, exec, s[16:17]
.LBB1_345:                              ;   in Loop: Header=BB1_283 Depth=1
	s_or_b64 exec, exec, s[14:15]
	global_load_dwordx2 v[32:33], v29, s[10:11] offset:40
	global_load_dwordx4 v[22:25], v29, s[10:11]
	v_readfirstlane_b32 s15, v7
	v_readfirstlane_b32 s14, v6
	s_mov_b64 s[16:17], exec
	s_waitcnt vmcnt(1)
	v_readfirstlane_b32 s18, v32
	v_readfirstlane_b32 s19, v33
	s_and_b64 s[18:19], s[18:19], s[14:15]
	s_mul_i32 s20, s19, 24
	s_mul_hi_u32 s21, s18, 24
	s_mul_i32 s24, s18, 24
	s_add_i32 s20, s21, s20
	v_mov_b32_e32 v6, s20
	s_waitcnt vmcnt(0)
	v_add_co_u32_e32 v32, vcc, s24, v22
	v_addc_co_u32_e32 v33, vcc, v23, v6, vcc
	s_and_saveexec_b64 s[20:21], s[4:5]
	s_cbranch_execz .LBB1_347
; %bb.346:                              ;   in Loop: Header=BB1_283 Depth=1
	v_mov_b32_e32 v6, s16
	v_mov_b32_e32 v7, s17
	global_store_dwordx4 v[32:33], v[6:9], off offset:8
.LBB1_347:                              ;   in Loop: Header=BB1_283 Depth=1
	s_or_b64 exec, exec, s[20:21]
	s_lshl_b64 s[16:17], s[18:19], 12
	v_mov_b32_e32 v6, s17
	v_add_co_u32_e32 v24, vcc, s16, v24
	v_addc_co_u32_e32 v25, vcc, v25, v6, vcc
	v_cmp_gt_u64_e32 vcc, 57, v[26:27]
	v_and_b32_e32 v0, 0xffffff1f, v0
	v_cndmask_b32_e32 v6, 0, v36, vcc
	v_lshl_add_u32 v7, v30, 2, 28
	v_or_b32_e32 v0, v0, v6
	v_and_or_b32 v0, v7, s23, v0
	v_readfirstlane_b32 s16, v24
	v_readfirstlane_b32 s17, v25
	s_nop 4
	global_store_dwordx4 v35, v[0:3], s[16:17]
	global_store_dwordx4 v35, v[10:13], s[16:17] offset:16
	global_store_dwordx4 v35, v[14:17], s[16:17] offset:32
	;; [unrolled: 1-line block ×3, first 2 shown]
	s_and_saveexec_b64 s[16:17], s[4:5]
	s_cbranch_execz .LBB1_355
; %bb.348:                              ;   in Loop: Header=BB1_283 Depth=1
	global_load_dwordx2 v[12:13], v29, s[10:11] offset:32 glc
	global_load_dwordx2 v[0:1], v29, s[10:11] offset:40
	v_mov_b32_e32 v10, s14
	v_mov_b32_e32 v11, s15
	s_waitcnt vmcnt(0)
	v_readfirstlane_b32 s18, v0
	v_readfirstlane_b32 s19, v1
	s_and_b64 s[18:19], s[18:19], s[14:15]
	s_mul_i32 s19, s19, 24
	s_mul_hi_u32 s20, s18, 24
	s_mul_i32 s18, s18, 24
	s_add_i32 s19, s20, s19
	v_mov_b32_e32 v0, s19
	v_add_co_u32_e32 v6, vcc, s18, v22
	v_addc_co_u32_e32 v7, vcc, v23, v0, vcc
	global_store_dwordx2 v[6:7], v[12:13], off
	s_waitcnt vmcnt(0)
	global_atomic_cmpswap_x2 v[2:3], v29, v[10:13], s[10:11] offset:32 glc
	s_waitcnt vmcnt(0)
	v_cmp_ne_u64_e32 vcc, v[2:3], v[12:13]
	s_and_saveexec_b64 s[18:19], vcc
	s_cbranch_execz .LBB1_351
; %bb.349:                              ;   in Loop: Header=BB1_283 Depth=1
	s_mov_b64 s[20:21], 0
.LBB1_350:                              ;   Parent Loop BB1_283 Depth=1
                                        ; =>  This Inner Loop Header: Depth=2
	s_sleep 1
	global_store_dwordx2 v[6:7], v[2:3], off
	v_mov_b32_e32 v0, s14
	v_mov_b32_e32 v1, s15
	s_waitcnt vmcnt(0)
	global_atomic_cmpswap_x2 v[0:1], v29, v[0:3], s[10:11] offset:32 glc
	s_waitcnt vmcnt(0)
	v_cmp_eq_u64_e32 vcc, v[0:1], v[2:3]
	v_mov_b32_e32 v3, v1
	s_or_b64 s[20:21], vcc, s[20:21]
	v_mov_b32_e32 v2, v0
	s_andn2_b64 exec, exec, s[20:21]
	s_cbranch_execnz .LBB1_350
.LBB1_351:                              ;   in Loop: Header=BB1_283 Depth=1
	s_or_b64 exec, exec, s[18:19]
	global_load_dwordx2 v[0:1], v29, s[10:11] offset:16
	s_mov_b64 s[20:21], exec
	v_mbcnt_lo_u32_b32 v2, s20, 0
	v_mbcnt_hi_u32_b32 v2, s21, v2
	v_cmp_eq_u32_e32 vcc, 0, v2
	s_and_saveexec_b64 s[18:19], vcc
	s_cbranch_execz .LBB1_353
; %bb.352:                              ;   in Loop: Header=BB1_283 Depth=1
	s_bcnt1_i32_b64 s20, s[20:21]
	v_mov_b32_e32 v28, s20
	s_waitcnt vmcnt(0)
	global_atomic_add_x2 v[0:1], v[28:29], off offset:8
.LBB1_353:                              ;   in Loop: Header=BB1_283 Depth=1
	s_or_b64 exec, exec, s[18:19]
	s_waitcnt vmcnt(0)
	global_load_dwordx2 v[2:3], v[0:1], off offset:16
	s_waitcnt vmcnt(0)
	v_cmp_eq_u64_e32 vcc, 0, v[2:3]
	s_cbranch_vccnz .LBB1_355
; %bb.354:                              ;   in Loop: Header=BB1_283 Depth=1
	global_load_dword v28, v[0:1], off offset:24
	s_waitcnt vmcnt(0)
	v_readfirstlane_b32 s18, v28
	s_and_b32 m0, s18, 0xffffff
	global_store_dwordx2 v[2:3], v[28:29], off
	s_sendmsg sendmsg(MSG_INTERRUPT)
.LBB1_355:                              ;   in Loop: Header=BB1_283 Depth=1
	s_or_b64 exec, exec, s[16:17]
	v_add_co_u32_e32 v0, vcc, v24, v35
	v_addc_co_u32_e32 v1, vcc, 0, v25, vcc
	s_branch .LBB1_359
.LBB1_356:                              ;   in Loop: Header=BB1_359 Depth=2
	s_or_b64 exec, exec, s[16:17]
	v_readfirstlane_b32 s16, v2
	s_cmp_eq_u32 s16, 0
	s_cbranch_scc1 .LBB1_358
; %bb.357:                              ;   in Loop: Header=BB1_359 Depth=2
	s_sleep 1
	s_cbranch_execnz .LBB1_359
	s_branch .LBB1_361
.LBB1_358:                              ;   in Loop: Header=BB1_283 Depth=1
	s_branch .LBB1_361
.LBB1_359:                              ;   Parent Loop BB1_283 Depth=1
                                        ; =>  This Inner Loop Header: Depth=2
	v_mov_b32_e32 v2, 1
	s_and_saveexec_b64 s[16:17], s[4:5]
	s_cbranch_execz .LBB1_356
; %bb.360:                              ;   in Loop: Header=BB1_359 Depth=2
	global_load_dword v2, v[32:33], off offset:20 glc
	s_waitcnt vmcnt(0)
	buffer_wbinvl1_vol
	v_and_b32_e32 v2, 1, v2
	s_branch .LBB1_356
.LBB1_361:                              ;   in Loop: Header=BB1_283 Depth=1
	global_load_dwordx2 v[0:1], v[0:1], off
	s_and_saveexec_b64 s[16:17], s[4:5]
	s_cbranch_execz .LBB1_282
; %bb.362:                              ;   in Loop: Header=BB1_283 Depth=1
	global_load_dwordx2 v[2:3], v29, s[10:11] offset:40
	global_load_dwordx2 v[14:15], v29, s[10:11] offset:24 glc
	global_load_dwordx2 v[6:7], v29, s[10:11]
	s_waitcnt vmcnt(2)
	v_readfirstlane_b32 s18, v2
	v_readfirstlane_b32 s19, v3
	s_add_u32 s20, s18, 1
	s_addc_u32 s21, s19, 0
	s_add_u32 s4, s20, s14
	s_addc_u32 s5, s21, s15
	s_cmp_eq_u64 s[4:5], 0
	s_cselect_b32 s5, s21, s5
	s_cselect_b32 s4, s20, s4
	s_and_b64 s[14:15], s[4:5], s[18:19]
	s_mul_i32 s15, s15, 24
	s_mul_hi_u32 s18, s14, 24
	s_mul_i32 s14, s14, 24
	s_add_i32 s15, s18, s15
	v_mov_b32_e32 v3, s15
	s_waitcnt vmcnt(0)
	v_add_co_u32_e32 v2, vcc, s14, v6
	v_addc_co_u32_e32 v3, vcc, v7, v3, vcc
	v_mov_b32_e32 v12, s4
	global_store_dwordx2 v[2:3], v[14:15], off
	v_mov_b32_e32 v13, s5
	s_waitcnt vmcnt(0)
	global_atomic_cmpswap_x2 v[12:13], v29, v[12:15], s[10:11] offset:24 glc
	s_waitcnt vmcnt(0)
	v_cmp_ne_u64_e32 vcc, v[12:13], v[14:15]
	s_and_b64 exec, exec, vcc
	s_cbranch_execz .LBB1_282
; %bb.363:                              ;   in Loop: Header=BB1_283 Depth=1
	s_mov_b64 s[14:15], 0
.LBB1_364:                              ;   Parent Loop BB1_283 Depth=1
                                        ; =>  This Inner Loop Header: Depth=2
	s_sleep 1
	global_store_dwordx2 v[2:3], v[12:13], off
	v_mov_b32_e32 v10, s4
	v_mov_b32_e32 v11, s5
	s_waitcnt vmcnt(0)
	global_atomic_cmpswap_x2 v[6:7], v29, v[10:13], s[10:11] offset:24 glc
	s_waitcnt vmcnt(0)
	v_cmp_eq_u64_e32 vcc, v[6:7], v[12:13]
	v_mov_b32_e32 v13, v7
	s_or_b64 s[14:15], vcc, s[14:15]
	v_mov_b32_e32 v12, v6
	s_andn2_b64 exec, exec, s[14:15]
	s_cbranch_execnz .LBB1_364
	s_branch .LBB1_282
.LBB1_365:
	s_or_b64 exec, exec, s[12:13]
                                        ; implicit-def: $vgpr35
                                        ; implicit-def: $vgpr34
.LBB1_366:
	s_andn2_saveexec_b64 s[6:7], s[6:7]
	s_cbranch_execz .LBB1_393
; %bb.367:
	v_readfirstlane_b32 s4, v34
	v_mov_b32_e32 v8, 0
	v_mov_b32_e32 v9, 0
	v_cmp_eq_u32_e64 s[4:5], s4, v34
	s_and_saveexec_b64 s[12:13], s[4:5]
	s_cbranch_execz .LBB1_373
; %bb.368:
	v_mov_b32_e32 v2, 0
	global_load_dwordx2 v[5:6], v2, s[10:11] offset:24 glc
	s_waitcnt vmcnt(0)
	buffer_wbinvl1_vol
	global_load_dwordx2 v[3:4], v2, s[10:11] offset:40
	global_load_dwordx2 v[7:8], v2, s[10:11]
	s_waitcnt vmcnt(1)
	v_and_b32_e32 v3, v3, v5
	v_and_b32_e32 v4, v4, v6
	v_mul_lo_u32 v4, v4, 24
	v_mul_hi_u32 v9, v3, 24
	v_mul_lo_u32 v3, v3, 24
	v_add_u32_e32 v4, v9, v4
	s_waitcnt vmcnt(0)
	v_add_co_u32_e32 v3, vcc, v7, v3
	v_addc_co_u32_e32 v4, vcc, v8, v4, vcc
	global_load_dwordx2 v[3:4], v[3:4], off glc
	s_waitcnt vmcnt(0)
	global_atomic_cmpswap_x2 v[8:9], v2, v[3:6], s[10:11] offset:24 glc
	s_waitcnt vmcnt(0)
	buffer_wbinvl1_vol
	v_cmp_ne_u64_e32 vcc, v[8:9], v[5:6]
	s_and_saveexec_b64 s[14:15], vcc
	s_cbranch_execz .LBB1_372
; %bb.369:
	s_mov_b64 s[16:17], 0
.LBB1_370:                              ; =>This Inner Loop Header: Depth=1
	s_sleep 1
	global_load_dwordx2 v[3:4], v2, s[10:11] offset:40
	global_load_dwordx2 v[10:11], v2, s[10:11]
	v_mov_b32_e32 v5, v8
	v_mov_b32_e32 v6, v9
	s_waitcnt vmcnt(1)
	v_and_b32_e32 v3, v3, v5
	s_waitcnt vmcnt(0)
	v_mad_u64_u32 v[7:8], s[18:19], v3, 24, v[10:11]
	v_and_b32_e32 v4, v4, v6
	v_mov_b32_e32 v3, v8
	v_mad_u64_u32 v[3:4], s[18:19], v4, 24, v[3:4]
	v_mov_b32_e32 v8, v3
	global_load_dwordx2 v[3:4], v[7:8], off glc
	s_waitcnt vmcnt(0)
	global_atomic_cmpswap_x2 v[8:9], v2, v[3:6], s[10:11] offset:24 glc
	s_waitcnt vmcnt(0)
	buffer_wbinvl1_vol
	v_cmp_eq_u64_e32 vcc, v[8:9], v[5:6]
	s_or_b64 s[16:17], vcc, s[16:17]
	s_andn2_b64 exec, exec, s[16:17]
	s_cbranch_execnz .LBB1_370
; %bb.371:
	s_or_b64 exec, exec, s[16:17]
.LBB1_372:
	s_or_b64 exec, exec, s[14:15]
.LBB1_373:
	s_or_b64 exec, exec, s[12:13]
	v_mov_b32_e32 v2, 0
	global_load_dwordx2 v[10:11], v2, s[10:11] offset:40
	global_load_dwordx4 v[4:7], v2, s[10:11]
	v_readfirstlane_b32 s13, v9
	v_readfirstlane_b32 s12, v8
	s_mov_b64 s[14:15], exec
	s_waitcnt vmcnt(1)
	v_readfirstlane_b32 s16, v10
	v_readfirstlane_b32 s17, v11
	s_and_b64 s[16:17], s[16:17], s[12:13]
	s_mul_i32 s18, s17, 24
	s_mul_hi_u32 s19, s16, 24
	s_mul_i32 s20, s16, 24
	s_add_i32 s18, s19, s18
	v_mov_b32_e32 v3, s18
	s_waitcnt vmcnt(0)
	v_add_co_u32_e32 v8, vcc, s20, v4
	v_addc_co_u32_e32 v9, vcc, v5, v3, vcc
	s_and_saveexec_b64 s[18:19], s[4:5]
	s_cbranch_execz .LBB1_375
; %bb.374:
	v_mov_b32_e32 v10, s14
	v_mov_b32_e32 v11, s15
	;; [unrolled: 1-line block ×4, first 2 shown]
	global_store_dwordx4 v[8:9], v[10:13], off offset:8
.LBB1_375:
	s_or_b64 exec, exec, s[18:19]
	s_lshl_b64 s[14:15], s[16:17], 12
	v_mov_b32_e32 v3, s15
	v_add_co_u32_e32 v10, vcc, s14, v6
	v_addc_co_u32_e32 v11, vcc, v7, v3, vcc
	s_movk_i32 s14, 0xff1f
	v_and_or_b32 v0, v0, s14, 32
	s_mov_b32 s16, 0
	v_mov_b32_e32 v3, v2
	v_readfirstlane_b32 s14, v10
	v_readfirstlane_b32 s15, v11
	v_add_co_u32_e32 v6, vcc, v10, v35
	s_mov_b32 s17, s16
	s_mov_b32 s18, s16
	s_mov_b32 s19, s16
	s_nop 0
	global_store_dwordx4 v35, v[0:3], s[14:15]
	v_addc_co_u32_e32 v7, vcc, 0, v11, vcc
	v_mov_b32_e32 v0, s16
	v_mov_b32_e32 v1, s17
	;; [unrolled: 1-line block ×4, first 2 shown]
	global_store_dwordx4 v35, v[0:3], s[14:15] offset:16
	global_store_dwordx4 v35, v[0:3], s[14:15] offset:32
	;; [unrolled: 1-line block ×3, first 2 shown]
	s_and_saveexec_b64 s[14:15], s[4:5]
	s_cbranch_execz .LBB1_383
; %bb.376:
	v_mov_b32_e32 v10, 0
	global_load_dwordx2 v[13:14], v10, s[10:11] offset:32 glc
	global_load_dwordx2 v[0:1], v10, s[10:11] offset:40
	v_mov_b32_e32 v11, s12
	v_mov_b32_e32 v12, s13
	s_waitcnt vmcnt(0)
	v_readfirstlane_b32 s16, v0
	v_readfirstlane_b32 s17, v1
	s_and_b64 s[16:17], s[16:17], s[12:13]
	s_mul_i32 s17, s17, 24
	s_mul_hi_u32 s18, s16, 24
	s_mul_i32 s16, s16, 24
	s_add_i32 s17, s18, s17
	v_mov_b32_e32 v0, s17
	v_add_co_u32_e32 v4, vcc, s16, v4
	v_addc_co_u32_e32 v5, vcc, v5, v0, vcc
	global_store_dwordx2 v[4:5], v[13:14], off
	s_waitcnt vmcnt(0)
	global_atomic_cmpswap_x2 v[2:3], v10, v[11:14], s[10:11] offset:32 glc
	s_waitcnt vmcnt(0)
	v_cmp_ne_u64_e32 vcc, v[2:3], v[13:14]
	s_and_saveexec_b64 s[16:17], vcc
	s_cbranch_execz .LBB1_379
; %bb.377:
	s_mov_b64 s[18:19], 0
.LBB1_378:                              ; =>This Inner Loop Header: Depth=1
	s_sleep 1
	global_store_dwordx2 v[4:5], v[2:3], off
	v_mov_b32_e32 v0, s12
	v_mov_b32_e32 v1, s13
	s_waitcnt vmcnt(0)
	global_atomic_cmpswap_x2 v[0:1], v10, v[0:3], s[10:11] offset:32 glc
	s_waitcnt vmcnt(0)
	v_cmp_eq_u64_e32 vcc, v[0:1], v[2:3]
	v_mov_b32_e32 v3, v1
	s_or_b64 s[18:19], vcc, s[18:19]
	v_mov_b32_e32 v2, v0
	s_andn2_b64 exec, exec, s[18:19]
	s_cbranch_execnz .LBB1_378
.LBB1_379:
	s_or_b64 exec, exec, s[16:17]
	v_mov_b32_e32 v3, 0
	global_load_dwordx2 v[0:1], v3, s[10:11] offset:16
	s_mov_b64 s[16:17], exec
	v_mbcnt_lo_u32_b32 v2, s16, 0
	v_mbcnt_hi_u32_b32 v2, s17, v2
	v_cmp_eq_u32_e32 vcc, 0, v2
	s_and_saveexec_b64 s[18:19], vcc
	s_cbranch_execz .LBB1_381
; %bb.380:
	s_bcnt1_i32_b64 s16, s[16:17]
	v_mov_b32_e32 v2, s16
	s_waitcnt vmcnt(0)
	global_atomic_add_x2 v[0:1], v[2:3], off offset:8
.LBB1_381:
	s_or_b64 exec, exec, s[18:19]
	s_waitcnt vmcnt(0)
	global_load_dwordx2 v[2:3], v[0:1], off offset:16
	s_waitcnt vmcnt(0)
	v_cmp_eq_u64_e32 vcc, 0, v[2:3]
	s_cbranch_vccnz .LBB1_383
; %bb.382:
	global_load_dword v0, v[0:1], off offset:24
	v_mov_b32_e32 v1, 0
	s_waitcnt vmcnt(0)
	v_readfirstlane_b32 s16, v0
	s_and_b32 m0, s16, 0xffffff
	global_store_dwordx2 v[2:3], v[0:1], off
	s_sendmsg sendmsg(MSG_INTERRUPT)
.LBB1_383:
	s_or_b64 exec, exec, s[14:15]
	s_branch .LBB1_387
.LBB1_384:                              ;   in Loop: Header=BB1_387 Depth=1
	s_or_b64 exec, exec, s[14:15]
	v_readfirstlane_b32 s14, v0
	s_cmp_eq_u32 s14, 0
	s_cbranch_scc1 .LBB1_386
; %bb.385:                              ;   in Loop: Header=BB1_387 Depth=1
	s_sleep 1
	s_cbranch_execnz .LBB1_387
	s_branch .LBB1_389
.LBB1_386:
	s_branch .LBB1_389
.LBB1_387:                              ; =>This Inner Loop Header: Depth=1
	v_mov_b32_e32 v0, 1
	s_and_saveexec_b64 s[14:15], s[4:5]
	s_cbranch_execz .LBB1_384
; %bb.388:                              ;   in Loop: Header=BB1_387 Depth=1
	global_load_dword v0, v[8:9], off offset:20 glc
	s_waitcnt vmcnt(0)
	buffer_wbinvl1_vol
	v_and_b32_e32 v0, 1, v0
	s_branch .LBB1_384
.LBB1_389:
	global_load_dwordx2 v[0:1], v[6:7], off
	s_and_saveexec_b64 s[14:15], s[4:5]
	s_cbranch_execz .LBB1_392
; %bb.390:
	v_mov_b32_e32 v8, 0
	global_load_dwordx2 v[2:3], v8, s[10:11] offset:40
	global_load_dwordx2 v[11:12], v8, s[10:11] offset:24 glc
	global_load_dwordx2 v[4:5], v8, s[10:11]
	s_waitcnt vmcnt(2)
	v_readfirstlane_b32 s16, v2
	v_readfirstlane_b32 s17, v3
	s_add_u32 s18, s16, 1
	s_addc_u32 s19, s17, 0
	s_add_u32 s4, s18, s12
	s_addc_u32 s5, s19, s13
	s_cmp_eq_u64 s[4:5], 0
	s_cselect_b32 s5, s19, s5
	s_cselect_b32 s4, s18, s4
	s_and_b64 s[12:13], s[4:5], s[16:17]
	s_mul_i32 s13, s13, 24
	s_mul_hi_u32 s16, s12, 24
	s_mul_i32 s12, s12, 24
	s_add_i32 s13, s16, s13
	v_mov_b32_e32 v2, s13
	s_waitcnt vmcnt(0)
	v_add_co_u32_e32 v6, vcc, s12, v4
	v_addc_co_u32_e32 v7, vcc, v5, v2, vcc
	v_mov_b32_e32 v9, s4
	global_store_dwordx2 v[6:7], v[11:12], off
	v_mov_b32_e32 v10, s5
	s_waitcnt vmcnt(0)
	global_atomic_cmpswap_x2 v[4:5], v8, v[9:12], s[10:11] offset:24 glc
	s_mov_b64 s[12:13], 0
	s_waitcnt vmcnt(0)
	v_cmp_ne_u64_e32 vcc, v[4:5], v[11:12]
	s_and_b64 exec, exec, vcc
	s_cbranch_execz .LBB1_392
.LBB1_391:                              ; =>This Inner Loop Header: Depth=1
	s_sleep 1
	global_store_dwordx2 v[6:7], v[4:5], off
	v_mov_b32_e32 v2, s4
	v_mov_b32_e32 v3, s5
	s_waitcnt vmcnt(0)
	global_atomic_cmpswap_x2 v[2:3], v8, v[2:5], s[10:11] offset:24 glc
	s_waitcnt vmcnt(0)
	v_cmp_eq_u64_e32 vcc, v[2:3], v[4:5]
	v_mov_b32_e32 v5, v3
	s_or_b64 s[12:13], vcc, s[12:13]
	v_mov_b32_e32 v4, v2
	s_andn2_b64 exec, exec, s[12:13]
	s_cbranch_execnz .LBB1_391
.LBB1_392:
	s_or_b64 exec, exec, s[14:15]
.LBB1_393:
	s_or_b64 exec, exec, s[6:7]
	s_getpc_b64 s[4:5]
	s_add_u32 s4, s4, .str.3@rel32@lo+4
	s_addc_u32 s5, s5, .str.3@rel32@hi+12
	s_getpc_b64 s[6:7]
	s_add_u32 s6, s6, .str.3@rel32@lo+32
	s_addc_u32 s7, s7, .str.3@rel32@hi+40
	s_sub_i32 s10, s6, s4
	s_ashr_i32 s11, s10, 31
	s_getpc_b64 s[6:7]
	s_add_u32 s6, s6, __ockl_fprintf_append_string_n@rel32@lo+4
	s_addc_u32 s7, s7, __ockl_fprintf_append_string_n@rel32@hi+12
	v_mov_b32_e32 v2, s4
	v_mov_b32_e32 v3, s5
	;; [unrolled: 1-line block ×5, first 2 shown]
	s_swappc_b64 s[30:31], s[6:7]
	s_trap 2
.Lfunc_end1:
	.size	__assert_fail, .Lfunc_end1-__assert_fail
                                        ; -- End function
	.set .L__assert_fail.num_vgpr, max(41, .L__ockl_fprintf_append_string_n.num_vgpr)
	.set .L__assert_fail.num_agpr, max(0, .L__ockl_fprintf_append_string_n.num_agpr)
	.set .L__assert_fail.numbered_sgpr, max(34, .L__ockl_fprintf_append_string_n.numbered_sgpr)
	.set .L__assert_fail.num_named_barrier, max(0, .L__ockl_fprintf_append_string_n.num_named_barrier)
	.set .L__assert_fail.private_seg_size, 64+max(.L__ockl_fprintf_append_string_n.private_seg_size)
	.set .L__assert_fail.uses_vcc, or(1, .L__ockl_fprintf_append_string_n.uses_vcc)
	.set .L__assert_fail.uses_flat_scratch, or(0, .L__ockl_fprintf_append_string_n.uses_flat_scratch)
	.set .L__assert_fail.has_dyn_sized_stack, or(0, .L__ockl_fprintf_append_string_n.has_dyn_sized_stack)
	.set .L__assert_fail.has_recursion, or(0, .L__ockl_fprintf_append_string_n.has_recursion)
	.set .L__assert_fail.has_indirect_call, or(0, .L__ockl_fprintf_append_string_n.has_indirect_call)
	.section	.AMDGPU.csdata,"",@progbits
; Function info:
; codeLenInByte = 13844
; TotalNumSgprs: 38
; NumVgprs: 41
; ScratchSize: 64
; MemoryBound: 0
	.text
	.p2align	2                               ; -- Begin function _ZN12_GLOBAL__N_17runRingI6__half10FuncMinMaxIS1_E11ProtoSimpleILi1ELi1ELi0ELi1ELi0ELi0EELi0ELi1ELi0EEEviiP15ncclDevWorkColl
	.type	_ZN12_GLOBAL__N_17runRingI6__half10FuncMinMaxIS1_E11ProtoSimpleILi1ELi1ELi0ELi1ELi0ELi0EELi0ELi1ELi0EEEviiP15ncclDevWorkColl,@function
_ZN12_GLOBAL__N_17runRingI6__half10FuncMinMaxIS1_E11ProtoSimpleILi1ELi1ELi0ELi1ELi0ELi0EELi0ELi1ELi0EEEviiP15ncclDevWorkColl: ; @_ZN12_GLOBAL__N_17runRingI6__half10FuncMinMaxIS1_E11ProtoSimpleILi1ELi1ELi0ELi1ELi0ELi0EELi0ELi1ELi0EEEviiP15ncclDevWorkColl
; %bb.0:
	s_waitcnt vmcnt(0) expcnt(0) lgkmcnt(0)
	s_mov_b32 s4, s33
	s_mov_b32 s33, s32
	s_or_saveexec_b64 s[6:7], -1
	buffer_store_dword v63, off, s[0:3], s33 offset:92 ; 4-byte Folded Spill
	s_mov_b64 exec, s[6:7]
	v_writelane_b32 v63, s4, 6
	s_addk_i32 s32, 0x1c00
	buffer_store_dword v40, off, s[0:3], s33 offset:56 ; 4-byte Folded Spill
	buffer_store_dword v41, off, s[0:3], s33 offset:52 ; 4-byte Folded Spill
	;; [unrolled: 1-line block ×14, first 2 shown]
	buffer_store_dword v62, off, s[0:3], s33 ; 4-byte Folded Spill
	v_writelane_b32 v63, s34, 0
	v_writelane_b32 v63, s35, 1
	;; [unrolled: 1-line block ×6, first 2 shown]
	s_trap 2
	ds_read_b64 v[14:15], v0
	ds_read_b32 v6, v0
	v_mov_b32_e32 v45, v1
	v_mov_b32_e32 v35, v0
	flat_load_ushort v16, v[2:3] offset:8
	flat_load_dwordx2 v[8:9], v[2:3]
	s_waitcnt lgkmcnt(0)
	v_ashrrev_i32_e32 v1, 31, v15
	v_mov_b32_e32 v0, v15
	v_lshlrev_b64 v[0:1], 2, v[0:1]
                                        ; implicit-def: $vgpr26_vgpr27
                                        ; implicit-def: $vgpr4_vgpr5
	v_add_co_u32_e32 v0, vcc, v14, v0
	v_addc_co_u32_e32 v1, vcc, v15, v1, vcc
	v_add_co_u32_e32 v0, vcc, -4, v0
	v_addc_co_u32_e32 v1, vcc, -1, v1, vcc
	flat_load_dword v18, v[0:1]
                                        ; implicit-def: $vgpr0_vgpr1
	s_waitcnt vmcnt(0)
	v_mov_b32_e32 v15, v9
	v_cmp_ne_u32_sdwa s[4:5], v6, v8 src0_sel:DWORD src1_sel:BYTE_0
	s_and_saveexec_b64 s[6:7], s[4:5]
	s_xor_b64 s[4:5], exec, s[6:7]
	s_cbranch_execz .LBB2_6
; %bb.1:
	v_not_b32_sdwa v9, v8 dst_sel:DWORD dst_unused:UNUSED_PAD src0_sel:BYTE_0
	v_cmp_ne_u32_sdwa s[6:7], v6, v8 src0_sel:DWORD src1_sel:BYTE_1
                                        ; implicit-def: $vgpr26_vgpr27
                                        ; implicit-def: $vgpr4_vgpr5
                                        ; implicit-def: $vgpr0_vgpr1
	s_and_saveexec_b64 s[10:11], s[6:7]
	s_xor_b64 s[6:7], exec, s[10:11]
	s_cbranch_execz .LBB2_3
; %bb.2:
	flat_load_dwordx4 v[10:13], v[2:3] offset:72
	flat_load_dwordx2 v[4:5], v[2:3] offset:96
	v_add_u32_e32 v6, v6, v9
	v_ashrrev_i32_e32 v0, 31, v6
                                        ; implicit-def: $vgpr8
                                        ; implicit-def: $vgpr9
	s_waitcnt vmcnt(0) lgkmcnt(0)
	v_mul_lo_u32 v7, v12, v0
	v_mad_u64_u32 v[0:1], s[10:11], v12, v6, v[10:11]
	v_mul_lo_u32 v6, v13, v6
	v_lshrrev_b64 v[26:27], 13, v[4:5]
	v_mov_b32_e32 v4, v12
	v_mov_b32_e32 v5, v13
	v_add3_u32 v1, v6, v1, v7
.LBB2_3:
	s_andn2_saveexec_b64 s[6:7], s[6:7]
	s_cbranch_execz .LBB2_5
; %bb.4:
	flat_load_dwordx4 v[10:13], v[2:3] offset:72
	flat_load_dwordx4 v[4:7], v[2:3] offset:88
	s_waitcnt vmcnt(0) lgkmcnt(0)
	v_add_u32_sdwa v6, v8, v9 dst_sel:DWORD dst_unused:UNUSED_PAD src0_sel:BYTE_1 src1_sel:DWORD
	v_ashrrev_i32_e32 v0, 31, v6
	v_mul_lo_u32 v8, v12, v0
	v_mad_u64_u32 v[0:1], s[10:11], v12, v6, v[10:11]
	v_mul_lo_u32 v6, v13, v6
	v_lshrrev_b32_e32 v26, 2, v7
	v_add3_u32 v1, v6, v1, v8
.LBB2_5:
	s_or_b64 exec, exec, s[6:7]
.LBB2_6:
	s_andn2_saveexec_b64 s[4:5], s[4:5]
	s_cbranch_execz .LBB2_8
; %bb.7:
	flat_load_dwordx2 v[0:1], v[2:3] offset:96
	flat_load_dwordx2 v[4:5], v[2:3] offset:72
	s_waitcnt vmcnt(0) lgkmcnt(0)
	v_lshlrev_b64 v[26:27], 8, v[0:1]
	v_mov_b32_e32 v0, 0
	v_mov_b32_e32 v1, 0
.LBB2_8:
	s_or_b64 exec, exec, s[4:5]
	s_trap 2
	ds_read_b64 v[6:7], v0
	s_waitcnt lgkmcnt(0)
	v_cmp_ne_u32_e32 vcc, -1, v6
	v_cndmask_b32_e64 v30, 0, 1, vcc
	v_cmp_ne_u32_e32 vcc, -1, v7
	v_addc_co_u32_e64 v6, s[4:5], 0, v30, vcc
	v_lshlrev_b32_e32 v7, 1, v6
	v_cmp_le_u32_e64 s[4:5], v7, v45
	s_and_saveexec_b64 s[6:7], s[4:5]
	s_xor_b64 s[28:29], exec, s[6:7]
	s_cbranch_execz .LBB2_967
; %bb.9:
	flat_load_dwordx4 v[10:13], v[2:3] offset:16
	flat_load_dwordx2 v[32:33], v[2:3] offset:104
	s_trap 2
	s_load_dword s4, s[8:9], 0x0
	v_mov_b32_e32 v2, 0
	v_mov_b32_e32 v44, 4
	s_waitcnt lgkmcnt(0)
	s_cmp_lt_u32 s12, s4
	s_cselect_b32 s4, 12, 18
	s_add_u32 s4, s8, s4
	s_addc_u32 s5, s9, 0
	global_load_ushort v59, v2, s[4:5]
	ds_read_b32 v2, v0
	v_cmp_ge_u32_e64 s[4:5], v35, v30
	s_waitcnt lgkmcnt(0)
	v_readfirstlane_b32 s12, v2
	s_and_saveexec_b64 s[6:7], s[4:5]
	s_cbranch_execz .LBB2_19
; %bb.10:
	v_cmp_ge_u32_e64 s[4:5], v35, v6
                                        ; implicit-def: $vgpr44
	s_and_saveexec_b64 s[10:11], s[4:5]
	s_xor_b64 s[4:5], exec, s[10:11]
	s_cbranch_execz .LBB2_16
; %bb.11:
	v_cndmask_b32_e64 v2, 0, 1, vcc
	v_sub_u32_e32 v2, v45, v2
	v_cmp_ge_u32_e32 vcc, v35, v2
	s_and_saveexec_b64 s[10:11], vcc
	s_xor_b64 s[10:11], exec, s[10:11]
; %bb.12:
                                        ; implicit-def: $vgpr6
; %bb.13:
	s_or_saveexec_b64 s[10:11], s[10:11]
	v_mov_b32_e32 v44, 16
	s_xor_b64 exec, exec, s[10:11]
; %bb.14:
	v_sub_u32_e32 v2, v45, v6
	v_cmp_lt_i32_e32 vcc, v35, v2
	v_cndmask_b32_e64 v44, 32, 0, vcc
; %bb.15:
	s_or_b64 exec, exec, s[10:11]
.LBB2_16:
	s_andn2_saveexec_b64 s[4:5], s[4:5]
; %bb.17:
	v_mov_b32_e32 v44, 8
; %bb.18:
	s_or_b64 exec, exec, s[4:5]
.LBB2_19:
	s_or_b64 exec, exec, s[6:7]
	v_and_b32_e32 v2, 36, v44
	v_cmp_ne_u32_e32 vcc, 0, v2
	v_mov_b32_e32 v36, -1
	s_and_saveexec_b64 s[4:5], vcc
	s_cbranch_execz .LBB2_21
; %bb.20:
	s_trap 2
	ds_read_b32 v36, v0
.LBB2_21:
	s_or_b64 exec, exec, s[4:5]
	v_and_b32_e32 v2, 24, v44
	v_cmp_ne_u32_e64 s[4:5], 0, v2
	s_and_saveexec_b64 s[6:7], s[4:5]
	s_cbranch_execz .LBB2_23
; %bb.22:
	s_trap 2
	s_waitcnt lgkmcnt(0)
	ds_read_b32 v36, v0
.LBB2_23:
	s_or_b64 exec, exec, s[6:7]
	v_lshrrev_b64 v[2:3], 31, v[15:16]
	v_mov_b32_e32 v60, 0
	v_mov_b32_e32 v6, 0
	;; [unrolled: 1-line block ×3, first 2 shown]
	v_and_b32_e32 v2, 3, v2
	v_mov_b32_e32 v7, 0
	s_waitcnt lgkmcnt(0)
	v_ashrrev_i32_e32 v37, 31, v36
                                        ; implicit-def: $vgpr8_vgpr9
                                        ; kill: killed $vgpr8_vgpr9
                                        ; implicit-def: $vgpr62
                                        ; implicit-def: $vgpr28_vgpr29
                                        ; implicit-def: $vgpr24_vgpr25
                                        ; implicit-def: $vgpr22_vgpr23
	s_and_saveexec_b64 s[4:5], vcc
	s_cbranch_execz .LBB2_33
; %bb.24:
	s_trap 2
	ds_read_b64 v[6:7], v0
	v_lshlrev_b64 v[8:9], 3, v[36:37]
	v_and_b32_e32 v3, 0xffff, v2
	s_movk_i32 s6, 0xa8
	s_waitcnt lgkmcnt(0)
	v_add_co_u32_e32 v6, vcc, v6, v8
	v_addc_co_u32_e32 v7, vcc, v7, v9, vcc
	flat_load_dwordx2 v[6:7], v[6:7]
	s_waitcnt vmcnt(0) lgkmcnt(0)
	v_mad_u64_u32 v[16:17], s[6:7], v3, s6, v[6:7]
                                        ; implicit-def: $vgpr6_vgpr7
                                        ; kill: killed $vgpr6_vgpr7
	flat_load_dword v3, v[16:17] offset:640
	s_waitcnt vmcnt(0) lgkmcnt(0)
	v_cmp_eq_u32_e32 vcc, 1, v3
	s_and_saveexec_b64 s[6:7], vcc
	s_cbranch_execz .LBB2_26
; %bb.25:
	flat_load_dwordx2 v[8:9], v[16:17] offset:648
	v_or_b32_e32 v44, 0x2000, v44
	s_waitcnt vmcnt(0) lgkmcnt(0)
	flat_load_dwordx2 v[6:7], v[8:9]
	s_trap 2
	s_waitcnt vmcnt(0) lgkmcnt(0)
	ds_write_b64 v0, v[6:7]
	flat_load_dwordx2 v[6:7], v[8:9] offset:8
	s_waitcnt vmcnt(0) lgkmcnt(0)
	ds_write_b64 v0, v[6:7]
	buffer_store_dword v8, off, s[0:3], s33 offset:72 ; 4-byte Folded Spill
	s_nop 0
	buffer_store_dword v9, off, s[0:3], s33 offset:76 ; 4-byte Folded Spill
	flat_load_dwordx2 v[6:7], v[8:9] offset:16
	s_waitcnt vmcnt(0) lgkmcnt(0)
	ds_write_b64 v0, v[6:7]
.LBB2_26:
	s_or_b64 exec, exec, s[6:7]
	flat_load_dwordx2 v[8:9], v[16:17] offset:608
	v_and_b32_e32 v3, 32, v44
	v_cmp_ne_u32_e32 vcc, 0, v3
                                        ; implicit-def: $vgpr22_vgpr23
	s_and_saveexec_b64 s[6:7], vcc
	s_cbranch_execz .LBB2_28
; %bb.27:
	flat_load_dwordx2 v[22:23], v[16:17] offset:560
	s_waitcnt vmcnt(0) lgkmcnt(0)
	flat_store_dwordx2 v[22:23], v[8:9]
.LBB2_28:
	s_or_b64 exec, exec, s[6:7]
	v_add_co_u32_e32 v60, vcc, 0x1f8, v16
	v_addc_co_u32_e32 v61, vcc, 0, v17, vcc
	v_and_b32_e32 v3, 4, v44
	v_mov_b32_e32 v6, 0
	v_mov_b32_e32 v7, 0
	v_cmp_ne_u32_e32 vcc, 0, v3
                                        ; implicit-def: $vgpr62
                                        ; implicit-def: $vgpr28_vgpr29
                                        ; implicit-def: $vgpr24_vgpr25
	s_and_saveexec_b64 s[6:7], vcc
	s_cbranch_execz .LBB2_32
; %bb.29:
	v_and_b32_e32 v3, 0x800, v44
	v_cmp_eq_u32_e32 vcc, 0, v3
	s_and_saveexec_b64 s[10:11], vcc
	s_cbranch_execz .LBB2_31
; %bb.30:
	s_trap 2
	ds_write_b64 v0, v[60:61]
.LBB2_31:
	s_or_b64 exec, exec, s[10:11]
	flat_load_dwordx2 v[22:23], v[16:17] offset:552
	s_waitcnt vmcnt(0) lgkmcnt(0)
	flat_load_dwordx2 v[28:29], v[22:23] glc
	flat_load_dword v3, v[16:17] offset:576
	flat_load_dwordx2 v[6:7], v[16:17] offset:600
	flat_load_dwordx2 v[24:25], v[16:17] offset:520
	v_or_b32_e32 v16, 0x100, v44
	s_waitcnt vmcnt(0) lgkmcnt(0)
	v_ashrrev_i32_e32 v62, 1, v3
	v_cmp_eq_u64_e32 vcc, 0, v[6:7]
	v_cndmask_b32_e32 v44, v16, v44, vcc
.LBB2_32:
	s_or_b64 exec, exec, s[6:7]
.LBB2_33:
	s_or_b64 exec, exec, s[4:5]
	v_and_b32_e32 v3, 24, v44
	v_cmp_ne_u32_e32 vcc, 0, v3
                                        ; implicit-def: $vgpr16_vgpr17
                                        ; kill: killed $vgpr16_vgpr17
	s_and_saveexec_b64 s[4:5], vcc
	s_cbranch_execz .LBB2_41
; %bb.34:
	s_trap 2
	ds_read_b64 v[6:7], v0
	s_waitcnt vmcnt(0) lgkmcnt(0)
	v_lshlrev_b64 v[8:9], 3, v[36:37]
	v_and_b32_e32 v2, 0xffff, v2
	s_movk_i32 s6, 0xa8
	v_add_co_u32_e32 v6, vcc, v6, v8
	v_addc_co_u32_e32 v7, vcc, v7, v9, vcc
	flat_load_dwordx2 v[6:7], v[6:7]
	s_waitcnt vmcnt(0) lgkmcnt(0)
	v_mad_u64_u32 v[60:61], s[6:7], v2, s6, v[6:7]
	v_or_b32_e32 v2, 0x100, v44
	flat_load_dwordx4 v[6:9], v[60:61] offset:96
	s_waitcnt vmcnt(0) lgkmcnt(0)
	v_cmp_eq_u64_e32 vcc, 0, v[6:7]
	v_cndmask_b32_e32 v44, v2, v44, vcc
	v_and_b32_e32 v2, 16, v44
	v_cmp_ne_u32_e32 vcc, 0, v2
                                        ; implicit-def: $vgpr2_vgpr3
                                        ; kill: killed $vgpr2_vgpr3
	s_and_saveexec_b64 s[6:7], vcc
	s_cbranch_execz .LBB2_36
; %bb.35:
	flat_load_dwordx2 v[22:23], v[60:61] offset:48
	flat_load_dwordx2 v[2:3], v[60:61] offset:120
	s_waitcnt vmcnt(0) lgkmcnt(0)
	buffer_store_dword v2, off, s[0:3], s33 offset:60 ; 4-byte Folded Spill
	s_nop 0
	buffer_store_dword v3, off, s[0:3], s33 offset:64 ; 4-byte Folded Spill
	flat_load_dwordx2 v[24:25], v[60:61] offset:16
.LBB2_36:
	s_or_b64 exec, exec, s[6:7]
	v_and_b32_e32 v2, 8, v44
	v_cmp_ne_u32_e32 vcc, 0, v2
	s_and_saveexec_b64 s[6:7], vcc
	s_cbranch_execz .LBB2_40
; %bb.37:
	v_and_b32_e32 v2, 0x800, v44
	v_cmp_eq_u32_e32 vcc, 0, v2
	s_and_saveexec_b64 s[10:11], vcc
	s_cbranch_execz .LBB2_39
; %bb.38:
	s_trap 2
	ds_write_b64 v0, v[60:61]
.LBB2_39:
	s_or_b64 exec, exec, s[10:11]
	flat_load_dwordx2 v[22:23], v[60:61] offset:56
	s_waitcnt vmcnt(0) lgkmcnt(0)
	flat_load_dwordx2 v[28:29], v[22:23] glc
	flat_load_dword v2, v[60:61] offset:72
	flat_load_dwordx2 v[24:25], v[60:61] offset:16
	s_waitcnt vmcnt(0) lgkmcnt(0)
	v_ashrrev_i32_e32 v62, 1, v2
.LBB2_40:
	s_or_b64 exec, exec, s[6:7]
.LBB2_41:
	s_or_b64 exec, exec, s[4:5]
	v_cmp_eq_u32_e64 s[4:5], 0, v35
	s_and_saveexec_b64 s[6:7], s[4:5]
	s_cbranch_execz .LBB2_43
; %bb.42:
	s_waitcnt vmcnt(0)
	v_mov_b32_e32 v2, v12
	v_mov_b32_e32 v3, v13
	ds_write2_b64 v0, v[2:3], v[10:11] offset1:1
	v_mov_b32_e32 v2, 0
	v_mov_b32_e32 v3, v2
	s_trap 2
	ds_write_b64 v0, v[2:3]
	ds_write_b64 v0, v[32:33]
.LBB2_43:
	s_or_b64 exec, exec, s[6:7]
	s_ashr_i32 s6, s12, 31
	s_lshr_b32 s6, s6, 29
	s_add_i32 s12, s12, s6
	v_bfe_u32 v2, v15, 1, 30
	s_waitcnt vmcnt(0)
	v_and_b32_e32 v32, 0x1fffff00, v26
	v_mov_b32_e32 v33, 0
	s_ashr_i32 s30, s12, 4
	v_cmp_ne_u32_e32 vcc, v18, v2
                                        ; implicit-def: $vgpr26_vgpr27
	s_and_saveexec_b64 s[6:7], vcc
	s_xor_b64 s[40:41], exec, s[6:7]
	s_cbranch_execz .LBB2_761
; %bb.44:
	v_cmp_ne_u32_e32 vcc, v14, v2
                                        ; implicit-def: $vgpr26_vgpr27
	s_and_saveexec_b64 s[6:7], vcc
	s_xor_b64 s[42:43], exec, s[6:7]
	s_cbranch_execz .LBB2_408
; %bb.45:
	v_mov_b32_e32 v26, 0
	v_cmp_ne_u64_e32 vcc, 0, v[4:5]
	v_mov_b32_e32 v27, 0
	s_and_saveexec_b64 s[44:45], vcc
	s_cbranch_execz .LBB2_407
; %bb.46:
	v_and_b32_e32 v2, 63, v31
	v_cmp_eq_u32_e64 s[12:13], 0, v2
	v_and_b32_e32 v2, 63, v35
	buffer_store_dword v60, off, s[0:3], s33 offset:80 ; 4-byte Folded Spill
	s_nop 0
	buffer_store_dword v61, off, s[0:3], s33 offset:84 ; 4-byte Folded Spill
	s_trap 2
	buffer_store_dword v59, off, s[0:3], s33 offset:68 ; 4-byte Folded Spill
	buffer_store_dword v31, off, s[0:3], s33 offset:88 ; 4-byte Folded Spill
	v_cmp_le_u32_e64 s[14:15], v2, v30
	v_cmp_lt_u32_e64 s[16:17], v2, v30
	v_lshlrev_b32_e32 v2, 1, v45
	v_cmp_ne_u32_sdwa s[46:47], v45, v59 src0_sel:DWORD src1_sel:WORD_0
	v_and_b32_e32 v59, 0x7f80, v2
	buffer_load_dword v2, off, s[0:3], s33 offset:60 ; 4-byte Folded Reload
	buffer_load_dword v3, off, s[0:3], s33 offset:64 ; 4-byte Folded Reload
	s_lshr_b32 s6, s30, 27
	s_add_i32 s6, s30, s6
	v_ashrrev_i32_e32 v53, 31, v62
	v_cmp_eq_u32_e32 vcc, 64, v45
	v_lshrrev_b32_e32 v46, 6, v45
	v_mov_b32_e32 v38, 0
	v_mov_b32_e32 v26, 0
	s_ashr_i32 s31, s6, 5
	v_cmp_ge_u32_e64 s[6:7], v35, v45
	v_cmp_ne_u32_e64 s[10:11], 64, v45
	v_mov_b32_e32 v36, 0
	v_lshlrev_b32_e32 v20, 4, v35
	v_lshlrev_b32_e32 v57, 10, v46
	;; [unrolled: 1-line block ×3, first 2 shown]
	s_mov_b64 s[56:57], 0
	v_mov_b32_e32 v39, 0
	v_mov_b32_e32 v27, 0
	s_movk_i32 s34, 0x108
	v_mov_b32_e32 v54, 1
	s_xor_b64 s[58:59], vcc, -1
	s_movk_i32 s35, 0x7c01
	s_movk_i32 s36, 0x7c00
	v_mov_b32_e32 v40, 0xc8
	v_mov_b32_e32 v41, 0x90
	;; [unrolled: 1-line block ×5, first 2 shown]
	s_waitcnt vmcnt(0)
	v_cmp_eq_u64_e64 s[18:19], 0, v[2:3]
	s_branch .LBB2_49
.LBB2_47:                               ;   in Loop: Header=BB2_49 Depth=1
	s_or_b64 exec, exec, s[20:21]
.LBB2_48:                               ;   in Loop: Header=BB2_49 Depth=1
	s_or_b64 exec, exec, s[22:23]
	v_add_co_u32_e32 v38, vcc, v38, v32
	v_addc_co_u32_e32 v39, vcc, 0, v39, vcc
	v_cmp_ge_u64_e32 vcc, v[38:39], v[4:5]
	s_or_b64 s[56:57], vcc, s[56:57]
	s_andn2_b64 exec, exec, s[56:57]
	s_cbranch_execz .LBB2_406
.LBB2_49:                               ; =>This Loop Header: Depth=1
                                        ;     Child Loop BB2_58 Depth 2
                                        ;     Child Loop BB2_86 Depth 2
	;; [unrolled: 1-line block ×10, first 2 shown]
	v_sub_co_u32_e32 v2, vcc, v4, v38
	v_subb_co_u32_e32 v3, vcc, v5, v39, vcc
	v_cmp_lt_u64_e32 vcc, v[32:33], v[2:3]
	v_cndmask_b32_e64 v49, v3, 0, vcc
	v_cndmask_b32_e32 v48, v2, v32, vcc
	v_cmp_eq_u64_e32 vcc, 0, v[48:49]
	v_add_u32_e32 v2, 15, v48
	v_and_b32_e32 v2, 0x3ffffff0, v2
	s_or_b64 s[60:61], s[6:7], vcc
	v_max_i32_e32 v56, s31, v2
	s_xor_b64 s[20:21], s[60:61], -1
	v_mov_b32_e32 v2, 0
	s_and_saveexec_b64 s[62:63], s[20:21]
	s_cbranch_execz .LBB2_354
; %bb.50:                               ;   in Loop: Header=BB2_49 Depth=1
	s_and_saveexec_b64 s[20:21], s[4:5]
	s_cbranch_execz .LBB2_52
; %bb.51:                               ;   in Loop: Header=BB2_49 Depth=1
	s_trap 2
	ds_read_b64 v[2:3], v0
	v_lshlrev_b64 v[10:11], 1, v[0:1]
	v_mov_b32_e32 v37, v36
	ds_write_b64 v0, v[36:37]
	s_waitcnt lgkmcnt(0)
	v_add_co_u32_e32 v10, vcc, v2, v10
	v_addc_co_u32_e32 v11, vcc, v3, v11, vcc
	v_lshlrev_b64 v[2:3], 1, v[38:39]
	v_add_co_u32_e32 v2, vcc, v10, v2
	v_addc_co_u32_e32 v3, vcc, v11, v3, vcc
	ds_write_b64 v0, v[2:3]
.LBB2_52:                               ;   in Loop: Header=BB2_49 Depth=1
	s_or_b64 exec, exec, s[20:21]
	v_and_b32_e32 v2, 12, v44
	v_min_u32_e32 v56, v56, v48
	v_cmp_ne_u32_e32 vcc, 0, v2
	s_and_saveexec_b64 s[22:23], vcc
	s_cbranch_execz .LBB2_78
; %bb.53:                               ;   in Loop: Header=BB2_49 Depth=1
	v_and_b32_e32 v2, 8, v44
	s_waitcnt vmcnt(0)
	v_add_co_u32_e32 v12, vcc, v28, v2
	v_addc_co_u32_e32 v13, vcc, 0, v29, vcc
	s_waitcnt lgkmcnt(0)
	v_add_co_u32_e32 v10, vcc, 1, v8
	v_addc_co_u32_e32 v11, vcc, 0, v9, vcc
	v_cmp_lt_u64_e32 vcc, v[12:13], v[10:11]
	s_and_saveexec_b64 s[24:25], vcc
	s_cbranch_execz .LBB2_65
; %bb.54:                               ;   in Loop: Header=BB2_49 Depth=1
	v_and_b32_e32 v3, 64, v44
	s_mov_b32 s37, 0
	v_cmp_eq_u32_e32 vcc, 0, v3
	s_mov_b64 s[26:27], 0
                                        ; implicit-def: $sgpr72_sgpr73
                                        ; implicit-def: $sgpr74_sgpr75
                                        ; implicit-def: $sgpr76_sgpr77
	s_branch .LBB2_58
.LBB2_55:                               ;   in Loop: Header=BB2_58 Depth=2
	s_waitcnt vmcnt(0) lgkmcnt(0)
	v_add_co_u32_e64 v12, s[20:21], v28, v2
	v_addc_co_u32_e64 v13, s[20:21], 0, v29, s[20:21]
	v_cmp_ge_u64_e64 s[20:21], v[12:13], v[10:11]
	s_or_b64 s[90:91], s[90:91], exec
	s_orn2_b64 s[88:89], s[20:21], exec
.LBB2_56:                               ;   in Loop: Header=BB2_58 Depth=2
	s_or_b64 exec, exec, s[94:95]
	s_andn2_b64 s[20:21], s[76:77], exec
	s_and_b64 s[76:77], s[90:91], exec
	s_or_b64 s[76:77], s[20:21], s[76:77]
	s_andn2_b64 s[20:21], s[74:75], exec
	s_and_b64 s[74:75], s[88:89], exec
	s_or_b64 s[74:75], s[20:21], s[74:75]
.LBB2_57:                               ;   in Loop: Header=BB2_58 Depth=2
	s_or_b64 exec, exec, s[78:79]
	s_and_b64 s[20:21], exec, s[74:75]
	s_or_b64 s[26:27], s[20:21], s[26:27]
	s_andn2_b64 s[20:21], s[72:73], exec
	s_and_b64 s[72:73], s[76:77], exec
	s_or_b64 s[72:73], s[20:21], s[72:73]
	s_andn2_b64 exec, exec, s[26:27]
	s_cbranch_execz .LBB2_62
.LBB2_58:                               ;   Parent Loop BB2_49 Depth=1
                                        ; =>  This Inner Loop Header: Depth=2
	s_sleep 1
	s_waitcnt vmcnt(0) lgkmcnt(0)
	flat_load_dwordx2 v[28:29], v[22:23] glc
	s_or_b64 s[76:77], s[76:77], exec
	s_or_b64 s[74:75], s[74:75], exec
                                        ; implicit-def: $vgpr3
	s_and_saveexec_b64 s[78:79], vcc
	s_cbranch_execz .LBB2_57
; %bb.59:                               ;   in Loop: Header=BB2_58 Depth=2
	s_cmpk_lt_i32 s37, 0x270f
	s_cselect_b64 s[92:93], -1, 0
	s_cmpk_gt_i32 s37, 0x270e
	s_mov_b64 s[88:89], -1
	s_cbranch_scc0 .LBB2_61
; %bb.60:                               ;   in Loop: Header=BB2_58 Depth=2
	s_trap 2
	ds_read_b64 v[12:13], v0
	s_andn2_b64 s[92:93], s[92:93], exec
	s_mov_b32 s37, 0
	s_mov_b64 s[90:91], 0
	s_waitcnt vmcnt(0) lgkmcnt(0)
	flat_load_dword v3, v[12:13] glc
	s_waitcnt vmcnt(0) lgkmcnt(0)
	buffer_wbinvl1_vol
	v_cmp_eq_u32_e64 s[20:21], 0, v3
	s_and_b64 s[20:21], s[20:21], exec
	s_or_b64 s[92:93], s[92:93], s[20:21]
	s_and_saveexec_b64 s[94:95], s[92:93]
	s_cbranch_execz .LBB2_56
	s_branch .LBB2_55
.LBB2_61:                               ;   in Loop: Header=BB2_58 Depth=2
	s_add_i32 s37, s37, 1
	s_mov_b64 s[90:91], -1
                                        ; implicit-def: $vgpr3
	s_and_saveexec_b64 s[94:95], s[92:93]
	s_cbranch_execz .LBB2_56
	s_branch .LBB2_55
.LBB2_62:                               ;   in Loop: Header=BB2_49 Depth=1
	s_or_b64 exec, exec, s[26:27]
	s_xor_b64 s[20:21], s[72:73], -1
	s_and_saveexec_b64 s[26:27], s[20:21]
	s_xor_b64 s[20:21], exec, s[26:27]
	s_cbranch_execz .LBB2_64
; %bb.63:                               ;   in Loop: Header=BB2_49 Depth=1
	v_or_b32_e32 v44, 64, v44
	s_waitcnt lgkmcnt(0)
	ds_write_b32 v0, v3
	s_trap 2
.LBB2_64:                               ;   in Loop: Header=BB2_49 Depth=1
	s_or_b64 exec, exec, s[20:21]
.LBB2_65:                               ;   in Loop: Header=BB2_49 Depth=1
	s_or_b64 exec, exec, s[24:25]
	v_and_b32_e32 v3, 0x108, v44
	v_cmp_ne_u32_e32 vcc, s34, v3
	v_and_b32_e32 v3, 7, v8
	;;#ASMSTART
	s_wakeup
	;;#ASMEND
	s_and_saveexec_b64 s[20:21], vcc
	s_xor_b64 s[20:21], exec, s[20:21]
                                        ; implicit-def: $vgpr14
; %bb.66:                               ;   in Loop: Header=BB2_49 Depth=1
	v_mov_b32_e32 v14, v36
; %bb.67:                               ;   in Loop: Header=BB2_49 Depth=1
	s_andn2_saveexec_b64 s[20:21], s[20:21]
	s_cbranch_execz .LBB2_69
; %bb.68:                               ;   in Loop: Header=BB2_49 Depth=1
	v_mad_u64_u32 v[8:9], s[24:25], v3, 24, v[6:7]
	v_mov_b32_e32 v14, v36
	v_lshlrev_b32_e32 v12, 1, v56
	v_mov_b32_e32 v13, v36
	flat_store_dwordx2 v[8:9], v[12:13] offset:8
.LBB2_69:                               ;   in Loop: Header=BB2_49 Depth=1
	s_or_b64 exec, exec, s[20:21]
	v_and_b32_e32 v8, 0x100, v44
	v_cmp_ne_u32_e32 vcc, 0, v8
	s_mov_b64 s[20:21], -1
                                        ; implicit-def: $vgpr8_vgpr9
	s_and_saveexec_b64 s[24:25], vcc
	s_cbranch_execz .LBB2_73
; %bb.70:                               ;   in Loop: Header=BB2_49 Depth=1
	v_mad_u64_u32 v[12:13], s[20:21], v3, 24, v[6:7]
	v_mov_b32_e32 v8, v13
	v_mad_u64_u32 v[8:9], s[20:21], v14, 24, v[8:9]
	v_mov_b32_e32 v13, v8
	flat_load_dword v8, v[12:13]
	s_waitcnt vmcnt(0) lgkmcnt(0)
	v_cmp_ne_u32_e32 vcc, 1, v8
	v_cmp_eq_u32_e64 s[20:21], 1, v8
                                        ; implicit-def: $vgpr8_vgpr9
	s_and_saveexec_b64 s[26:27], s[20:21]
	s_cbranch_execz .LBB2_72
; %bb.71:                               ;   in Loop: Header=BB2_49 Depth=1
	flat_load_dword v8, v[12:13] offset:4 glc
	s_waitcnt vmcnt(0) lgkmcnt(0)
	v_ashrrev_i32_e32 v9, 31, v8
	v_lshrrev_b64 v[8:9], 1, v[8:9]
.LBB2_72:                               ;   in Loop: Header=BB2_49 Depth=1
	s_or_b64 exec, exec, s[26:27]
	s_orn2_b64 s[20:21], vcc, exec
.LBB2_73:                               ;   in Loop: Header=BB2_49 Depth=1
	s_or_b64 exec, exec, s[24:25]
	s_and_saveexec_b64 s[24:25], s[20:21]
	s_cbranch_execz .LBB2_75
; %bb.74:                               ;   in Loop: Header=BB2_49 Depth=1
	v_mul_lo_u32 v12, v14, v62
	v_mul_lo_u32 v13, v3, v53
	v_mad_u64_u32 v[8:9], s[20:21], v3, v62, 0
	v_add3_u32 v9, v9, v13, v12
.LBB2_75:                               ;   in Loop: Header=BB2_49 Depth=1
	s_or_b64 exec, exec, s[24:25]
	v_cmp_eq_u32_e32 vcc, 0, v2
	v_lshlrev_b64 v[2:3], 1, v[8:9]
	v_cndmask_b32_e32 v12, v40, v41, vcc
	v_add_co_u32_e32 v2, vcc, v24, v2
	v_addc_co_u32_e32 v3, vcc, v25, v3, vcc
	v_add_u32_e32 v8, v0, v12
	ds_write_b64 v8, v[2:3] offset:584
	v_and_b32_e32 v2, 0x2000, v44
	v_cmp_ne_u32_e32 vcc, 0, v2
	s_and_saveexec_b64 s[20:21], vcc
	s_cbranch_execz .LBB2_77
; %bb.76:                               ;   in Loop: Header=BB2_49 Depth=1
	ds_read_b64 v[2:3], v0 offset:872
	s_waitcnt lgkmcnt(0)
	v_add_co_u32_e32 v2, vcc, 1, v2
	v_addc_co_u32_e32 v3, vcc, 0, v3, vcc
	ds_write_b64 v0, v[2:3] offset:872
.LBB2_77:                               ;   in Loop: Header=BB2_49 Depth=1
	s_or_b64 exec, exec, s[20:21]
	v_mov_b32_e32 v8, v10
	v_mov_b32_e32 v9, v11
.LBB2_78:                               ;   in Loop: Header=BB2_49 Depth=1
	s_or_b64 exec, exec, s[22:23]
	s_and_saveexec_b64 s[20:21], s[10:11]
	s_cbranch_execz .LBB2_97
; %bb.79:                               ;   in Loop: Header=BB2_49 Depth=1
	s_and_saveexec_b64 s[22:23], s[46:47]
	s_xor_b64 s[22:23], exec, s[22:23]
	s_cbranch_execz .LBB2_94
; %bb.80:                               ;   in Loop: Header=BB2_49 Depth=1
	s_and_saveexec_b64 s[24:25], s[12:13]
	s_cbranch_execz .LBB2_93
; %bb.81:                               ;   in Loop: Header=BB2_49 Depth=1
	s_mov_b64 s[72:73], exec
	v_mbcnt_lo_u32_b32 v2, s72, 0
	v_mbcnt_hi_u32_b32 v2, s73, v2
	v_cmp_eq_u32_e32 vcc, 0, v2
	s_waitcnt vmcnt(0) lgkmcnt(0)
	buffer_wbinvl1_vol
	s_and_saveexec_b64 s[26:27], vcc
	s_cbranch_execz .LBB2_83
; %bb.82:                               ;   in Loop: Header=BB2_49 Depth=1
	s_bcnt1_i32_b64 s72, s[72:73]
	v_mov_b32_e32 v2, s72
	v_mov_b32_e32 v3, v36
	ds_add_u64 v0, v[2:3]
	s_trap 2
.LBB2_83:                               ;   in Loop: Header=BB2_49 Depth=1
	s_or_b64 exec, exec, s[26:27]
	s_trap 2
	ds_read_b64 v[2:3], v0
	s_waitcnt lgkmcnt(0)
	v_add_co_u32_e32 v26, vcc, v26, v46
	v_addc_co_u32_e32 v27, vcc, 0, v27, vcc
	v_cmp_lt_u64_e32 vcc, v[2:3], v[26:27]
	s_and_saveexec_b64 s[26:27], vcc
	s_cbranch_execz .LBB2_92
; %bb.84:                               ;   in Loop: Header=BB2_49 Depth=1
	s_mov_b32 s92, 0
	s_mov_b64 s[72:73], 0
                                        ; implicit-def: $sgpr74_sgpr75
                                        ; implicit-def: $sgpr76_sgpr77
	s_branch .LBB2_86
.LBB2_85:                               ;   in Loop: Header=BB2_86 Depth=2
	s_or_b64 exec, exec, s[88:89]
	s_and_b64 s[78:79], exec, s[90:91]
	s_or_b64 s[72:73], s[78:79], s[72:73]
	s_andn2_b64 s[74:75], s[74:75], exec
	s_and_b64 s[78:79], s[76:77], exec
	s_or_b64 s[74:75], s[74:75], s[78:79]
	s_andn2_b64 exec, exec, s[72:73]
	s_cbranch_execz .LBB2_90
.LBB2_86:                               ;   Parent Loop BB2_49 Depth=1
                                        ; =>  This Inner Loop Header: Depth=2
	s_add_i32 s92, s92, 1
	s_cmpk_lg_i32 s92, 0x2710
	s_cselect_b64 s[78:79], -1, 0
	s_and_b64 vcc, exec, s[78:79]
	s_cbranch_vccz .LBB2_88
; %bb.87:                               ;   in Loop: Header=BB2_86 Depth=2
	s_mov_b64 s[90:91], -1
	s_or_b64 s[76:77], s[76:77], exec
	s_and_saveexec_b64 s[88:89], s[78:79]
	s_cbranch_execz .LBB2_85
	s_branch .LBB2_89
.LBB2_88:                               ;   in Loop: Header=BB2_86 Depth=2
	s_trap 2
	ds_read_b64 v[2:3], v0
	s_andn2_b64 s[78:79], s[78:79], exec
	s_mov_b32 s92, 0
	s_waitcnt lgkmcnt(0)
	flat_load_dword v2, v[2:3] glc
	s_waitcnt vmcnt(0) lgkmcnt(0)
	buffer_wbinvl1_vol
	v_cmp_eq_u32_e32 vcc, 0, v2
	s_and_b64 s[88:89], vcc, exec
	s_or_b64 s[78:79], s[78:79], s[88:89]
	s_mov_b64 s[90:91], -1
	s_or_b64 s[76:77], s[76:77], exec
	s_and_saveexec_b64 s[88:89], s[78:79]
	s_cbranch_execz .LBB2_85
.LBB2_89:                               ;   in Loop: Header=BB2_86 Depth=2
	s_sleep 1
	s_trap 2
	ds_read_b64 v[2:3], v0
	s_waitcnt lgkmcnt(0)
	s_andn2_b64 s[76:77], s[76:77], exec
	v_cmp_ge_u64_e32 vcc, v[2:3], v[26:27]
	s_orn2_b64 s[90:91], vcc, exec
	s_branch .LBB2_85
.LBB2_90:                               ;   in Loop: Header=BB2_49 Depth=1
	s_or_b64 exec, exec, s[72:73]
	s_and_saveexec_b64 s[72:73], s[74:75]
	s_xor_b64 s[72:73], exec, s[72:73]
	s_cbranch_execz .LBB2_92
; %bb.91:                               ;   in Loop: Header=BB2_49 Depth=1
	ds_write_b32 v0, v54
	s_trap 2
.LBB2_92:                               ;   in Loop: Header=BB2_49 Depth=1
	s_or_b64 exec, exec, s[26:27]
	;;#ASMSTART
	s_wakeup
	;;#ASMEND
.LBB2_93:                               ;   in Loop: Header=BB2_49 Depth=1
	s_or_b64 exec, exec, s[24:25]
.LBB2_94:                               ;   in Loop: Header=BB2_49 Depth=1
	s_andn2_saveexec_b64 s[22:23], s[22:23]
	s_cbranch_execz .LBB2_96
; %bb.95:                               ;   in Loop: Header=BB2_49 Depth=1
	s_waitcnt vmcnt(0) lgkmcnt(0)
	buffer_wbinvl1_vol
	s_barrier
.LBB2_96:                               ;   in Loop: Header=BB2_49 Depth=1
	s_or_b64 exec, exec, s[22:23]
.LBB2_97:                               ;   in Loop: Header=BB2_49 Depth=1
	s_or_b64 exec, exec, s[20:21]
	s_trap 2
	ds_read_b32 v2, v0
	v_and_b32_e32 v3, 0x4000, v44
	v_cmp_ne_u32_e32 vcc, 0, v3
	s_and_b64 s[22:23], s[58:59], vcc
	s_and_saveexec_b64 s[20:21], s[22:23]
	s_cbranch_execz .LBB2_116
; %bb.98:                               ;   in Loop: Header=BB2_49 Depth=1
	s_and_saveexec_b64 s[22:23], s[46:47]
	s_xor_b64 s[22:23], exec, s[22:23]
	s_cbranch_execz .LBB2_113
; %bb.99:                               ;   in Loop: Header=BB2_49 Depth=1
	s_and_saveexec_b64 s[24:25], s[12:13]
	s_cbranch_execz .LBB2_112
; %bb.100:                              ;   in Loop: Header=BB2_49 Depth=1
	s_mov_b64 s[72:73], exec
	v_mbcnt_lo_u32_b32 v3, s72, 0
	v_mbcnt_hi_u32_b32 v3, s73, v3
	v_cmp_eq_u32_e32 vcc, 0, v3
	s_waitcnt vmcnt(0) lgkmcnt(0)
	buffer_wbinvl1_vol
	s_and_saveexec_b64 s[26:27], vcc
	s_cbranch_execz .LBB2_102
; %bb.101:                              ;   in Loop: Header=BB2_49 Depth=1
	s_bcnt1_i32_b64 s72, s[72:73]
	v_mov_b32_e32 v10, s72
	v_mov_b32_e32 v11, v36
	ds_add_u64 v0, v[10:11]
	s_trap 2
.LBB2_102:                              ;   in Loop: Header=BB2_49 Depth=1
	s_or_b64 exec, exec, s[26:27]
	s_trap 2
	ds_read_b64 v[10:11], v0
	s_waitcnt lgkmcnt(0)
	v_add_co_u32_e32 v26, vcc, v26, v46
	v_addc_co_u32_e32 v27, vcc, 0, v27, vcc
	v_cmp_lt_u64_e32 vcc, v[10:11], v[26:27]
	s_and_saveexec_b64 s[26:27], vcc
	s_cbranch_execz .LBB2_111
; %bb.103:                              ;   in Loop: Header=BB2_49 Depth=1
	s_mov_b32 s92, 0
	s_mov_b64 s[72:73], 0
                                        ; implicit-def: $sgpr74_sgpr75
                                        ; implicit-def: $sgpr76_sgpr77
	s_branch .LBB2_105
.LBB2_104:                              ;   in Loop: Header=BB2_105 Depth=2
	s_or_b64 exec, exec, s[88:89]
	s_and_b64 s[78:79], exec, s[90:91]
	s_or_b64 s[72:73], s[78:79], s[72:73]
	s_andn2_b64 s[74:75], s[74:75], exec
	s_and_b64 s[78:79], s[76:77], exec
	s_or_b64 s[74:75], s[74:75], s[78:79]
	s_andn2_b64 exec, exec, s[72:73]
	s_cbranch_execz .LBB2_109
.LBB2_105:                              ;   Parent Loop BB2_49 Depth=1
                                        ; =>  This Inner Loop Header: Depth=2
	s_add_i32 s92, s92, 1
	s_cmpk_lg_i32 s92, 0x2710
	s_cselect_b64 s[78:79], -1, 0
	s_and_b64 vcc, exec, s[78:79]
	s_cbranch_vccz .LBB2_107
; %bb.106:                              ;   in Loop: Header=BB2_105 Depth=2
	s_mov_b64 s[90:91], -1
	s_or_b64 s[76:77], s[76:77], exec
	s_and_saveexec_b64 s[88:89], s[78:79]
	s_cbranch_execz .LBB2_104
	s_branch .LBB2_108
.LBB2_107:                              ;   in Loop: Header=BB2_105 Depth=2
	s_trap 2
	ds_read_b64 v[10:11], v0
	s_andn2_b64 s[78:79], s[78:79], exec
	s_mov_b32 s92, 0
	s_waitcnt lgkmcnt(0)
	flat_load_dword v3, v[10:11] glc
	s_waitcnt vmcnt(0) lgkmcnt(0)
	buffer_wbinvl1_vol
	v_cmp_eq_u32_e32 vcc, 0, v3
	s_and_b64 s[88:89], vcc, exec
	s_or_b64 s[78:79], s[78:79], s[88:89]
	s_mov_b64 s[90:91], -1
	s_or_b64 s[76:77], s[76:77], exec
	s_and_saveexec_b64 s[88:89], s[78:79]
	s_cbranch_execz .LBB2_104
.LBB2_108:                              ;   in Loop: Header=BB2_105 Depth=2
	s_sleep 1
	s_trap 2
	ds_read_b64 v[10:11], v0
	s_waitcnt lgkmcnt(0)
	s_andn2_b64 s[76:77], s[76:77], exec
	v_cmp_ge_u64_e32 vcc, v[10:11], v[26:27]
	s_orn2_b64 s[90:91], vcc, exec
	s_branch .LBB2_104
.LBB2_109:                              ;   in Loop: Header=BB2_49 Depth=1
	s_or_b64 exec, exec, s[72:73]
	s_and_saveexec_b64 s[72:73], s[74:75]
	s_xor_b64 s[72:73], exec, s[72:73]
	s_cbranch_execz .LBB2_111
; %bb.110:                              ;   in Loop: Header=BB2_49 Depth=1
	ds_write_b32 v0, v54
	s_trap 2
.LBB2_111:                              ;   in Loop: Header=BB2_49 Depth=1
	s_or_b64 exec, exec, s[26:27]
	;;#ASMSTART
	s_wakeup
	;;#ASMEND
.LBB2_112:                              ;   in Loop: Header=BB2_49 Depth=1
	s_or_b64 exec, exec, s[24:25]
.LBB2_113:                              ;   in Loop: Header=BB2_49 Depth=1
	s_andn2_saveexec_b64 s[22:23], s[22:23]
	s_cbranch_execz .LBB2_115
; %bb.114:                              ;   in Loop: Header=BB2_49 Depth=1
	s_waitcnt vmcnt(0) lgkmcnt(0)
	buffer_wbinvl1_vol
	s_barrier
.LBB2_115:                              ;   in Loop: Header=BB2_49 Depth=1
	s_or_b64 exec, exec, s[22:23]
.LBB2_116:                              ;   in Loop: Header=BB2_49 Depth=1
	s_or_b64 exec, exec, s[20:21]
	s_trap 2
	ds_read_b64 v[49:50], v0
	s_waitcnt lgkmcnt(0)
	v_cmp_eq_u64_e32 vcc, 0, v[49:50]
	s_cbranch_vccnz .LBB2_124
; %bb.117:                              ;   in Loop: Header=BB2_49 Depth=1
	s_trap 2
	ds_read_b64 v[51:52], v0
	s_waitcnt lgkmcnt(0)
	v_cmp_eq_u64_e32 vcc, 0, v[51:52]
	s_cbranch_vccnz .LBB2_124
; %bb.118:                              ;   in Loop: Header=BB2_49 Depth=1
	s_trap 2
	ds_read_b64 v[10:11], v0
	s_mov_b64 s[20:21], -1
	s_waitcnt lgkmcnt(0)
	v_readfirstlane_b32 s94, v10
	s_and_saveexec_b64 s[22:23], s[14:15]
	s_cbranch_execz .LBB2_120
; %bb.119:                              ;   in Loop: Header=BB2_49 Depth=1
	ds_read_b32 v3, v0 offset:720
	s_waitcnt lgkmcnt(0)
	v_and_b32_e32 v3, 15, v3
	v_cmp_eq_u32_e32 vcc, 0, v3
	s_orn2_b64 s[20:21], vcc, exec
.LBB2_120:                              ;   in Loop: Header=BB2_49 Depth=1
	s_or_b64 exec, exec, s[22:23]
	s_and_saveexec_b64 s[22:23], s[16:17]
	s_cbranch_execz .LBB2_122
; %bb.121:                              ;   in Loop: Header=BB2_49 Depth=1
	ds_read_b32 v3, v0 offset:784
	s_waitcnt lgkmcnt(0)
	v_and_b32_e32 v3, 15, v3
	v_cmp_eq_u32_e32 vcc, 0, v3
	s_and_b64 s[24:25], s[20:21], vcc
	s_andn2_b64 s[20:21], s[20:21], exec
	s_and_b64 s[24:25], s[24:25], exec
	s_or_b64 s[20:21], s[20:21], s[24:25]
.LBB2_122:                              ;   in Loop: Header=BB2_49 Depth=1
	s_or_b64 exec, exec, s[22:23]
	v_cmp_eq_u32_e32 vcc, 0, v2
	s_xor_b64 s[20:21], s[20:21], -1
	v_cndmask_b32_e32 v37, 0, v56, vcc
	v_cndmask_b32_e64 v3, 0, 1, s[20:21]
	v_lshlrev_b32_e32 v2, 1, v37
	s_mov_b64 s[22:23], -1
	v_cmp_ne_u32_e32 vcc, 0, v3
	v_mov_b32_e32 v16, 0
	s_cbranch_vccz .LBB2_125
; %bb.123:                              ;   in Loop: Header=BB2_49 Depth=1
	v_mov_b32_e32 v17, v35
	s_and_saveexec_b64 s[72:73], s[22:23]
	s_cbranch_execnz .LBB2_264
	s_branch .LBB2_328
.LBB2_124:                              ;   in Loop: Header=BB2_49 Depth=1
	s_mov_b64 s[20:21], 0
	s_and_saveexec_b64 s[22:23], s[10:11]
	s_cbranch_execnz .LBB2_329
	s_branch .LBB2_347
.LBB2_125:                              ;   in Loop: Header=BB2_49 Depth=1
	v_lshrrev_b32_e32 v10, 9, v37
	v_lshlrev_b32_e32 v55, 10, v10
	v_sub_u32_e32 v30, v2, v55
	v_lshrrev_b32_e32 v11, 6, v35
	v_sub_u32_e32 v10, v10, v11
	v_cmp_lt_i32_e64 s[20:21], 15, v30
	v_sub_u32_e32 v3, v2, v20
	v_addc_co_u32_e64 v61, vcc, 0, v10, s[20:21]
	v_cmp_lt_i32_e32 vcc, 15, v3
	s_and_saveexec_b64 s[72:73], vcc
	s_cbranch_execz .LBB2_193
; %bb.126:                              ;   in Loop: Header=BB2_49 Depth=1
	s_trap 2
	ds_read_b64 v[10:11], v0
	v_mov_b32_e32 v12, v20
	v_add_co_u32_e32 v53, vcc, v49, v12
	v_addc_co_u32_e32 v54, vcc, 0, v50, vcc
	s_waitcnt lgkmcnt(0)
	v_add_co_u32_e32 v40, vcc, v10, v12
	v_addc_co_u32_e32 v41, vcc, 0, v11, vcc
	v_add_co_u32_e32 v42, vcc, v51, v12
	s_bitcmp1_b32 s94, 0
	v_addc_co_u32_e32 v43, vcc, 0, v52, vcc
	s_mov_b64 s[74:75], 0
	s_cselect_b64 s[76:77], -1, 0
	s_branch .LBB2_129
.LBB2_127:                              ;   in Loop: Header=BB2_129 Depth=2
	s_or_b64 exec, exec, s[88:89]
	v_mov_b32_e32 v17, v13
.LBB2_128:                              ;   in Loop: Header=BB2_129 Depth=2
	v_lshlrev_b32_e32 v11, 16, v11
	v_and_b32_e32 v13, 0xffff, v14
	v_add_co_u32_e32 v53, vcc, v53, v57
	v_lshlrev_b32_e32 v10, 16, v10
	v_and_b32_e32 v14, 0xffff, v31
	v_or3_b32 v11, v11, v13, 0
	v_lshlrev_b32_e32 v12, 16, v12
	v_and_b32_e32 v13, 0xffff, v15
	v_addc_co_u32_e32 v54, vcc, 0, v54, vcc
	v_or_b32_e32 v10, v10, v14
	v_or_b32_e32 v12, v12, v13
	v_lshlrev_b32_e32 v13, 16, v17
	v_and_b32_e32 v14, 0xffff, v16
	v_add_co_u32_e32 v40, vcc, v40, v57
	v_or3_b32 v10, 0, 0, v10
	v_or3_b32 v13, v13, v14, 0
	;; [unrolled: 1-line block ×3, first 2 shown]
	v_addc_co_u32_e32 v41, vcc, 0, v41, vcc
	global_store_dwordx4 v[42:43], v[10:13], off glc slc
	v_add_co_u32_e32 v42, vcc, v42, v57
	v_addc_co_u32_e32 v43, vcc, 0, v43, vcc
	v_sub_u32_e32 v3, v3, v57
	v_cmp_gt_i32_e32 vcc, 16, v3
	s_or_b64 s[74:75], vcc, s[74:75]
	v_sub_u32_e32 v61, v61, v46
	s_andn2_b64 exec, exec, s[74:75]
	s_cbranch_execz .LBB2_192
.LBB2_129:                              ;   Parent Loop BB2_49 Depth=1
                                        ; =>  This Inner Loop Header: Depth=2
	global_load_dwordx4 v[10:13], v[53:54], off glc slc
	global_load_dwordx4 v[14:17], v[40:41], off glc slc
	s_mov_b64 s[88:89], -1
	s_and_b64 vcc, exec, s[76:77]
                                        ; implicit-def: $vgpr31
	s_waitcnt vmcnt(0)
	v_and_b32_e32 v18, 0x7fff, v14
	v_cmp_gt_u16_e64 s[22:23], s35, v18
	v_cmp_lt_u16_e64 s[24:25], s36, v18
	v_and_b32_e32 v18, 0x7fff, v10
	v_cmp_lt_u16_e64 s[26:27], s36, v18
	s_and_b64 s[78:79], s[26:27], s[22:23]
	s_xor_b64 s[78:79], s[78:79], -1
	s_cbranch_vccz .LBB2_133
; %bb.130:                              ;   in Loop: Header=BB2_129 Depth=2
	v_mov_b32_e32 v31, v14
	s_and_saveexec_b64 s[88:89], s[78:79]
; %bb.131:                              ;   in Loop: Header=BB2_129 Depth=2
	v_cmp_gt_f16_e32 vcc, v10, v14
	v_cndmask_b32_e32 v18, v14, v10, vcc
	s_and_b64 vcc, s[26:27], s[24:25]
	v_cndmask_b32_e32 v18, v18, v47, vcc
	s_or_b64 vcc, s[26:27], s[22:23]
	v_cndmask_b32_e32 v31, v10, v18, vcc
; %bb.132:                              ;   in Loop: Header=BB2_129 Depth=2
	s_or_b64 exec, exec, s[88:89]
	s_mov_b64 s[88:89], 0
.LBB2_133:                              ;   in Loop: Header=BB2_129 Depth=2
	s_andn2_b64 vcc, exec, s[88:89]
	s_cbranch_vccnz .LBB2_137
; %bb.134:                              ;   in Loop: Header=BB2_129 Depth=2
	v_mov_b32_e32 v31, v14
	s_and_saveexec_b64 s[88:89], s[78:79]
; %bb.135:                              ;   in Loop: Header=BB2_129 Depth=2
	v_cmp_gt_f16_e32 vcc, v10, v14
	v_cndmask_b32_e32 v18, v10, v14, vcc
	s_and_b64 vcc, s[26:27], s[24:25]
	v_cndmask_b32_e32 v18, v18, v47, vcc
	s_or_b64 vcc, s[26:27], s[22:23]
	v_cndmask_b32_e32 v31, v10, v18, vcc
; %bb.136:                              ;   in Loop: Header=BB2_129 Depth=2
	s_or_b64 exec, exec, s[88:89]
.LBB2_137:                              ;   in Loop: Header=BB2_129 Depth=2
	v_lshrrev_b32_e32 v14, 16, v14
	v_lshrrev_b32_e32 v60, 16, v10
	v_and_b32_e32 v18, 0x7fff, v14
	v_and_b32_e32 v10, 0x7fff, v60
	v_cmp_gt_u16_e64 s[22:23], s35, v18
	v_cmp_lt_u16_e64 s[26:27], s36, v10
	s_and_b64 s[78:79], s[26:27], s[22:23]
	v_cmp_lt_u16_e64 s[24:25], s36, v18
	s_mov_b64 s[88:89], -1
	s_xor_b64 s[78:79], s[78:79], -1
	s_and_b64 vcc, exec, s[76:77]
                                        ; implicit-def: $vgpr10
	s_cbranch_vccz .LBB2_141
; %bb.138:                              ;   in Loop: Header=BB2_129 Depth=2
	v_mov_b32_e32 v10, v14
	s_and_saveexec_b64 s[88:89], s[78:79]
; %bb.139:                              ;   in Loop: Header=BB2_129 Depth=2
	v_cmp_gt_f16_e32 vcc, v60, v14
	v_cndmask_b32_e32 v10, v14, v60, vcc
	s_and_b64 vcc, s[26:27], s[24:25]
	v_cndmask_b32_e32 v10, v10, v47, vcc
	s_or_b64 vcc, s[26:27], s[22:23]
	v_cndmask_b32_e32 v10, v60, v10, vcc
; %bb.140:                              ;   in Loop: Header=BB2_129 Depth=2
	s_or_b64 exec, exec, s[88:89]
	s_mov_b64 s[88:89], 0
.LBB2_141:                              ;   in Loop: Header=BB2_129 Depth=2
	s_andn2_b64 vcc, exec, s[88:89]
	s_cbranch_vccnz .LBB2_145
; %bb.142:                              ;   in Loop: Header=BB2_129 Depth=2
	s_and_saveexec_b64 s[88:89], s[78:79]
; %bb.143:                              ;   in Loop: Header=BB2_129 Depth=2
	v_cmp_gt_f16_e32 vcc, v60, v14
	v_cndmask_b32_e32 v10, v60, v14, vcc
	s_and_b64 vcc, s[26:27], s[24:25]
	v_cndmask_b32_e32 v10, v10, v47, vcc
	s_or_b64 vcc, s[26:27], s[22:23]
	v_cndmask_b32_e32 v14, v60, v10, vcc
; %bb.144:                              ;   in Loop: Header=BB2_129 Depth=2
	s_or_b64 exec, exec, s[88:89]
	v_mov_b32_e32 v10, v14
.LBB2_145:                              ;   in Loop: Header=BB2_129 Depth=2
	v_and_b32_e32 v14, 0x7fff, v15
	v_cmp_gt_u16_e64 s[22:23], s35, v14
	v_cmp_lt_u16_e64 s[24:25], s36, v14
	v_and_b32_e32 v14, 0x7fff, v11
	v_cmp_lt_u16_e64 s[26:27], s36, v14
	s_and_b64 s[78:79], s[26:27], s[22:23]
	s_mov_b64 s[88:89], -1
	s_xor_b64 s[78:79], s[78:79], -1
	s_and_b64 vcc, exec, s[76:77]
                                        ; implicit-def: $vgpr14
	s_cbranch_vccz .LBB2_149
; %bb.146:                              ;   in Loop: Header=BB2_129 Depth=2
	v_mov_b32_e32 v14, v15
	s_and_saveexec_b64 s[88:89], s[78:79]
; %bb.147:                              ;   in Loop: Header=BB2_129 Depth=2
	v_cmp_gt_f16_e32 vcc, v11, v15
	v_cndmask_b32_e32 v14, v15, v11, vcc
	s_and_b64 vcc, s[26:27], s[24:25]
	v_cndmask_b32_e32 v14, v14, v47, vcc
	s_or_b64 vcc, s[26:27], s[22:23]
	v_cndmask_b32_e32 v14, v11, v14, vcc
; %bb.148:                              ;   in Loop: Header=BB2_129 Depth=2
	s_or_b64 exec, exec, s[88:89]
	s_mov_b64 s[88:89], 0
.LBB2_149:                              ;   in Loop: Header=BB2_129 Depth=2
	s_andn2_b64 vcc, exec, s[88:89]
	s_cbranch_vccnz .LBB2_153
; %bb.150:                              ;   in Loop: Header=BB2_129 Depth=2
	v_mov_b32_e32 v14, v15
	s_and_saveexec_b64 s[88:89], s[78:79]
; %bb.151:                              ;   in Loop: Header=BB2_129 Depth=2
	v_cmp_gt_f16_e32 vcc, v11, v15
	v_cndmask_b32_e32 v14, v11, v15, vcc
	s_and_b64 vcc, s[26:27], s[24:25]
	v_cndmask_b32_e32 v14, v14, v47, vcc
	s_or_b64 vcc, s[26:27], s[22:23]
	v_cndmask_b32_e32 v14, v11, v14, vcc
; %bb.152:                              ;   in Loop: Header=BB2_129 Depth=2
	s_or_b64 exec, exec, s[88:89]
.LBB2_153:                              ;   in Loop: Header=BB2_129 Depth=2
	v_lshrrev_b32_e32 v15, 16, v15
	v_lshrrev_b32_e32 v60, 16, v11
	v_and_b32_e32 v11, 0x7fff, v15
	v_cmp_gt_u16_e64 s[22:23], s35, v11
	v_cmp_lt_u16_e64 s[24:25], s36, v11
	v_and_b32_e32 v11, 0x7fff, v60
	v_cmp_lt_u16_e64 s[26:27], s36, v11
	s_and_b64 s[78:79], s[26:27], s[22:23]
	s_mov_b64 s[88:89], -1
	s_xor_b64 s[78:79], s[78:79], -1
	s_and_b64 vcc, exec, s[76:77]
                                        ; implicit-def: $vgpr11
	s_cbranch_vccz .LBB2_157
; %bb.154:                              ;   in Loop: Header=BB2_129 Depth=2
	v_mov_b32_e32 v11, v15
	s_and_saveexec_b64 s[88:89], s[78:79]
; %bb.155:                              ;   in Loop: Header=BB2_129 Depth=2
	v_cmp_gt_f16_e32 vcc, v60, v15
	v_cndmask_b32_e32 v11, v15, v60, vcc
	s_and_b64 vcc, s[26:27], s[24:25]
	v_cndmask_b32_e32 v11, v11, v47, vcc
	s_or_b64 vcc, s[26:27], s[22:23]
	v_cndmask_b32_e32 v11, v60, v11, vcc
; %bb.156:                              ;   in Loop: Header=BB2_129 Depth=2
	s_or_b64 exec, exec, s[88:89]
	s_mov_b64 s[88:89], 0
.LBB2_157:                              ;   in Loop: Header=BB2_129 Depth=2
	s_andn2_b64 vcc, exec, s[88:89]
	s_cbranch_vccnz .LBB2_161
; %bb.158:                              ;   in Loop: Header=BB2_129 Depth=2
	s_and_saveexec_b64 s[88:89], s[78:79]
; %bb.159:                              ;   in Loop: Header=BB2_129 Depth=2
	v_cmp_gt_f16_e32 vcc, v60, v15
	v_cndmask_b32_e32 v11, v60, v15, vcc
	s_and_b64 vcc, s[26:27], s[24:25]
	v_cndmask_b32_e32 v11, v11, v47, vcc
	s_or_b64 vcc, s[26:27], s[22:23]
	v_cndmask_b32_e32 v15, v60, v11, vcc
; %bb.160:                              ;   in Loop: Header=BB2_129 Depth=2
	s_or_b64 exec, exec, s[88:89]
	v_mov_b32_e32 v11, v15
.LBB2_161:                              ;   in Loop: Header=BB2_129 Depth=2
	v_and_b32_e32 v15, 0x7fff, v16
	v_cmp_gt_u16_e64 s[22:23], s35, v15
	v_cmp_lt_u16_e64 s[24:25], s36, v15
	v_and_b32_e32 v15, 0x7fff, v12
	v_cmp_lt_u16_e64 s[26:27], s36, v15
	s_and_b64 s[78:79], s[26:27], s[22:23]
	s_mov_b64 s[88:89], -1
	s_xor_b64 s[78:79], s[78:79], -1
	s_and_b64 vcc, exec, s[76:77]
                                        ; implicit-def: $vgpr15
	s_cbranch_vccz .LBB2_165
; %bb.162:                              ;   in Loop: Header=BB2_129 Depth=2
	v_mov_b32_e32 v15, v16
	s_and_saveexec_b64 s[88:89], s[78:79]
; %bb.163:                              ;   in Loop: Header=BB2_129 Depth=2
	v_cmp_gt_f16_e32 vcc, v12, v16
	v_cndmask_b32_e32 v15, v16, v12, vcc
	s_and_b64 vcc, s[26:27], s[24:25]
	v_cndmask_b32_e32 v15, v15, v47, vcc
	s_or_b64 vcc, s[26:27], s[22:23]
	v_cndmask_b32_e32 v15, v12, v15, vcc
; %bb.164:                              ;   in Loop: Header=BB2_129 Depth=2
	s_or_b64 exec, exec, s[88:89]
	s_mov_b64 s[88:89], 0
.LBB2_165:                              ;   in Loop: Header=BB2_129 Depth=2
	s_andn2_b64 vcc, exec, s[88:89]
	s_cbranch_vccnz .LBB2_169
; %bb.166:                              ;   in Loop: Header=BB2_129 Depth=2
	v_mov_b32_e32 v15, v16
	s_and_saveexec_b64 s[88:89], s[78:79]
; %bb.167:                              ;   in Loop: Header=BB2_129 Depth=2
	v_cmp_gt_f16_e32 vcc, v12, v16
	v_cndmask_b32_e32 v15, v12, v16, vcc
	s_and_b64 vcc, s[26:27], s[24:25]
	v_cndmask_b32_e32 v15, v15, v47, vcc
	s_or_b64 vcc, s[26:27], s[22:23]
	v_cndmask_b32_e32 v15, v12, v15, vcc
; %bb.168:                              ;   in Loop: Header=BB2_129 Depth=2
	s_or_b64 exec, exec, s[88:89]
.LBB2_169:                              ;   in Loop: Header=BB2_129 Depth=2
	v_lshrrev_b32_e32 v16, 16, v16
	v_lshrrev_b32_e32 v60, 16, v12
	v_and_b32_e32 v12, 0x7fff, v16
	v_cmp_gt_u16_e64 s[22:23], s35, v12
	v_cmp_lt_u16_e64 s[24:25], s36, v12
	v_and_b32_e32 v12, 0x7fff, v60
	v_cmp_lt_u16_e64 s[26:27], s36, v12
	s_and_b64 s[78:79], s[26:27], s[22:23]
	s_mov_b64 s[88:89], -1
	s_xor_b64 s[78:79], s[78:79], -1
	s_and_b64 vcc, exec, s[76:77]
                                        ; implicit-def: $vgpr12
	s_cbranch_vccz .LBB2_173
; %bb.170:                              ;   in Loop: Header=BB2_129 Depth=2
	v_mov_b32_e32 v12, v16
	s_and_saveexec_b64 s[88:89], s[78:79]
; %bb.171:                              ;   in Loop: Header=BB2_129 Depth=2
	v_cmp_gt_f16_e32 vcc, v60, v16
	v_cndmask_b32_e32 v12, v16, v60, vcc
	s_and_b64 vcc, s[26:27], s[24:25]
	v_cndmask_b32_e32 v12, v12, v47, vcc
	s_or_b64 vcc, s[26:27], s[22:23]
	v_cndmask_b32_e32 v12, v60, v12, vcc
; %bb.172:                              ;   in Loop: Header=BB2_129 Depth=2
	s_or_b64 exec, exec, s[88:89]
	s_mov_b64 s[88:89], 0
.LBB2_173:                              ;   in Loop: Header=BB2_129 Depth=2
	s_andn2_b64 vcc, exec, s[88:89]
	s_cbranch_vccnz .LBB2_177
; %bb.174:                              ;   in Loop: Header=BB2_129 Depth=2
	s_and_saveexec_b64 s[88:89], s[78:79]
; %bb.175:                              ;   in Loop: Header=BB2_129 Depth=2
	v_cmp_gt_f16_e32 vcc, v60, v16
	v_cndmask_b32_e32 v12, v60, v16, vcc
	s_and_b64 vcc, s[26:27], s[24:25]
	v_cndmask_b32_e32 v12, v12, v47, vcc
	s_or_b64 vcc, s[26:27], s[22:23]
	v_cndmask_b32_e32 v16, v60, v12, vcc
; %bb.176:                              ;   in Loop: Header=BB2_129 Depth=2
	s_or_b64 exec, exec, s[88:89]
	v_mov_b32_e32 v12, v16
.LBB2_177:                              ;   in Loop: Header=BB2_129 Depth=2
	v_and_b32_e32 v16, 0x7fff, v17
	v_cmp_gt_u16_e64 s[22:23], s35, v16
	v_cmp_lt_u16_e64 s[24:25], s36, v16
	v_and_b32_e32 v16, 0x7fff, v13
	v_cmp_lt_u16_e64 s[26:27], s36, v16
	s_and_b64 s[78:79], s[26:27], s[22:23]
	s_mov_b64 s[88:89], -1
	s_xor_b64 s[78:79], s[78:79], -1
	s_and_b64 vcc, exec, s[76:77]
                                        ; implicit-def: $vgpr16
	s_cbranch_vccz .LBB2_181
; %bb.178:                              ;   in Loop: Header=BB2_129 Depth=2
	v_mov_b32_e32 v16, v17
	s_and_saveexec_b64 s[88:89], s[78:79]
; %bb.179:                              ;   in Loop: Header=BB2_129 Depth=2
	v_cmp_gt_f16_e32 vcc, v13, v17
	v_cndmask_b32_e32 v16, v17, v13, vcc
	s_and_b64 vcc, s[26:27], s[24:25]
	v_cndmask_b32_e32 v16, v16, v47, vcc
	s_or_b64 vcc, s[26:27], s[22:23]
	v_cndmask_b32_e32 v16, v13, v16, vcc
; %bb.180:                              ;   in Loop: Header=BB2_129 Depth=2
	s_or_b64 exec, exec, s[88:89]
	s_mov_b64 s[88:89], 0
.LBB2_181:                              ;   in Loop: Header=BB2_129 Depth=2
	s_andn2_b64 vcc, exec, s[88:89]
	s_cbranch_vccnz .LBB2_185
; %bb.182:                              ;   in Loop: Header=BB2_129 Depth=2
	v_mov_b32_e32 v16, v17
	s_and_saveexec_b64 s[88:89], s[78:79]
; %bb.183:                              ;   in Loop: Header=BB2_129 Depth=2
	v_cmp_gt_f16_e32 vcc, v13, v17
	v_cndmask_b32_e32 v16, v13, v17, vcc
	s_and_b64 vcc, s[26:27], s[24:25]
	v_cndmask_b32_e32 v16, v16, v47, vcc
	s_or_b64 vcc, s[26:27], s[22:23]
	v_cndmask_b32_e32 v16, v13, v16, vcc
; %bb.184:                              ;   in Loop: Header=BB2_129 Depth=2
	s_or_b64 exec, exec, s[88:89]
.LBB2_185:                              ;   in Loop: Header=BB2_129 Depth=2
	v_lshrrev_b32_e32 v60, 16, v13
	v_lshrrev_b32_e32 v13, 16, v17
	v_and_b32_e32 v17, 0x7fff, v13
	v_cmp_gt_u16_e64 s[22:23], s35, v17
	v_cmp_lt_u16_e64 s[24:25], s36, v17
	v_and_b32_e32 v17, 0x7fff, v60
	v_cmp_lt_u16_e64 s[26:27], s36, v17
	s_and_b64 s[78:79], s[26:27], s[22:23]
	s_mov_b64 s[88:89], -1
	s_xor_b64 s[78:79], s[78:79], -1
	s_and_b64 vcc, exec, s[76:77]
                                        ; implicit-def: $vgpr17
	s_cbranch_vccz .LBB2_189
; %bb.186:                              ;   in Loop: Header=BB2_129 Depth=2
	v_mov_b32_e32 v17, v13
	s_and_saveexec_b64 s[88:89], s[78:79]
; %bb.187:                              ;   in Loop: Header=BB2_129 Depth=2
	v_cmp_gt_f16_e32 vcc, v60, v13
	v_cndmask_b32_e32 v17, v13, v60, vcc
	s_and_b64 vcc, s[26:27], s[24:25]
	v_cndmask_b32_e32 v17, v17, v47, vcc
	s_or_b64 vcc, s[26:27], s[22:23]
	v_cndmask_b32_e32 v17, v60, v17, vcc
; %bb.188:                              ;   in Loop: Header=BB2_129 Depth=2
	s_or_b64 exec, exec, s[88:89]
	s_mov_b64 s[88:89], 0
.LBB2_189:                              ;   in Loop: Header=BB2_129 Depth=2
	s_andn2_b64 vcc, exec, s[88:89]
	s_cbranch_vccnz .LBB2_128
; %bb.190:                              ;   in Loop: Header=BB2_129 Depth=2
	s_and_saveexec_b64 s[88:89], s[78:79]
	s_cbranch_execz .LBB2_127
; %bb.191:                              ;   in Loop: Header=BB2_129 Depth=2
	v_cmp_gt_f16_e32 vcc, v60, v13
	v_cndmask_b32_e32 v13, v60, v13, vcc
	s_and_b64 vcc, s[26:27], s[24:25]
	v_cndmask_b32_e32 v13, v13, v47, vcc
	s_or_b64 vcc, s[26:27], s[22:23]
	v_cndmask_b32_e32 v13, v60, v13, vcc
	s_branch .LBB2_127
.LBB2_192:                              ;   in Loop: Header=BB2_49 Depth=1
	s_or_b64 exec, exec, s[74:75]
	v_mov_b32_e32 v53, v21
	v_mov_b32_e32 v54, 1
	v_mov_b32_e32 v40, 0xc8
	v_mov_b32_e32 v41, 0x90
.LBB2_193:                              ;   in Loop: Header=BB2_49 Depth=1
	s_or_b64 exec, exec, s[72:73]
	v_and_b32_e32 v10, 14, v2
	v_cndmask_b32_e64 v3, v30, v10, s[20:21]
	v_mov_b32_e32 v16, 0
	v_cmp_ne_u32_e32 vcc, 0, v3
	s_mov_b64 s[22:23], 0
                                        ; implicit-def: $vgpr2
                                        ; implicit-def: $vgpr17
	s_and_saveexec_b64 s[72:73], vcc
	s_cbranch_execz .LBB2_263
; %bb.194:                              ;   in Loop: Header=BB2_49 Depth=1
	v_sub_u32_e32 v2, v30, v10
	v_cndmask_b32_e64 v2, 0, v2, s[20:21]
	v_cmp_lt_i32_e32 vcc, 0, v61
	v_add_u32_e32 v18, v2, v55
	v_cndmask_b32_e32 v2, 0, v46, vcc
	v_sub_u32_e32 v2, v2, v61
	v_and_b32_e32 v10, 63, v35
	v_lshl_or_b32 v2, v2, 6, v10
	v_ashrrev_i32_e32 v10, 31, v2
	v_lshrrev_b32_e32 v10, 26, v10
	v_add_u32_e32 v10, v2, v10
	v_ashrrev_i32_e32 v11, 6, v10
	v_and_b32_e32 v10, 0xffffffc0, v10
	v_sub_u32_e32 v55, v2, v10
	v_ashrrev_i32_e32 v10, 31, v3
	v_lshrrev_b32_e32 v10, 22, v10
	v_add_u32_e32 v10, v3, v10
	v_and_b32_e32 v30, 0xfffffc00, v10
	v_lshlrev_b32_e32 v2, 4, v55
	v_sub_u32_e32 v61, v3, v30
	v_lshl_add_u32 v2, v11, 10, v2
	v_ashrrev_i32_e32 v12, 10, v10
	v_cmp_lt_i32_e64 s[20:21], 15, v61
	v_sub_u32_e32 v62, v3, v2
	v_addc_co_u32_e64 v10, vcc, 0, v12, s[20:21]
	v_sub_u32_e32 v31, v10, v11
	v_cmp_lt_i32_e32 vcc, 15, v62
	s_and_saveexec_b64 s[74:75], vcc
	s_cbranch_execz .LBB2_262
; %bb.195:                              ;   in Loop: Header=BB2_49 Depth=1
	s_trap 2
	ds_read_b64 v[10:11], v0
	v_add_u32_e32 v2, v2, v18
	v_ashrrev_i32_e32 v12, 31, v2
	v_add_co_u32_e32 v53, vcc, v2, v49
	v_addc_co_u32_e32 v54, vcc, v12, v50, vcc
	s_waitcnt lgkmcnt(0)
	v_add_co_u32_e32 v40, vcc, v10, v2
	v_addc_co_u32_e32 v41, vcc, v11, v12, vcc
	v_add_co_u32_e32 v42, vcc, v2, v51
	s_bitcmp1_b32 s94, 0
	v_addc_co_u32_e32 v43, vcc, v12, v52, vcc
	s_mov_b64 s[76:77], 0
	s_cselect_b64 s[78:79], -1, 0
	s_branch .LBB2_198
.LBB2_196:                              ;   in Loop: Header=BB2_198 Depth=2
	s_or_b64 exec, exec, s[90:91]
	v_mov_b32_e32 v17, v13
.LBB2_197:                              ;   in Loop: Header=BB2_198 Depth=2
	v_lshlrev_b32_e32 v2, 16, v11
	v_and_b32_e32 v11, 0xffff, v14
	v_add_co_u32_e32 v53, vcc, v53, v57
	v_lshlrev_b32_e32 v10, 16, v10
	v_and_b32_e32 v13, 0xffff, v60
	v_or3_b32 v11, v2, v11, 0
	v_lshlrev_b32_e32 v2, 16, v12
	v_and_b32_e32 v12, 0xffff, v15
	v_addc_co_u32_e32 v54, vcc, 0, v54, vcc
	v_or_b32_e32 v10, v10, v13
	v_or_b32_e32 v2, v2, v12
	v_lshlrev_b32_e32 v12, 16, v17
	v_and_b32_e32 v13, 0xffff, v16
	v_add_co_u32_e32 v40, vcc, v40, v57
	v_or3_b32 v10, 0, 0, v10
	v_or3_b32 v13, v12, v13, 0
	;; [unrolled: 1-line block ×3, first 2 shown]
	v_addc_co_u32_e32 v41, vcc, 0, v41, vcc
	global_store_dwordx4 v[42:43], v[10:13], off glc slc
	v_add_co_u32_e32 v42, vcc, v42, v57
	v_addc_co_u32_e32 v43, vcc, 0, v43, vcc
	v_sub_u32_e32 v62, v62, v57
	v_cmp_gt_i32_e32 vcc, 16, v62
	s_or_b64 s[76:77], vcc, s[76:77]
	v_sub_u32_e32 v31, v31, v46
	s_andn2_b64 exec, exec, s[76:77]
	s_cbranch_execz .LBB2_261
.LBB2_198:                              ;   Parent Loop BB2_49 Depth=1
                                        ; =>  This Inner Loop Header: Depth=2
	global_load_dwordx4 v[10:13], v[53:54], off glc slc
	global_load_dwordx4 v[14:17], v[40:41], off glc slc
	s_mov_b64 s[90:91], -1
	s_and_b64 vcc, exec, s[78:79]
                                        ; implicit-def: $vgpr60
	s_waitcnt vmcnt(0)
	v_and_b32_e32 v2, 0x7fff, v14
	v_cmp_gt_u16_e64 s[22:23], s35, v2
	v_cmp_lt_u16_e64 s[24:25], s36, v2
	v_and_b32_e32 v2, 0x7fff, v10
	v_cmp_lt_u16_e64 s[26:27], s36, v2
	s_and_b64 s[88:89], s[26:27], s[22:23]
	s_xor_b64 s[88:89], s[88:89], -1
	s_cbranch_vccz .LBB2_202
; %bb.199:                              ;   in Loop: Header=BB2_198 Depth=2
	v_mov_b32_e32 v60, v14
	s_and_saveexec_b64 s[90:91], s[88:89]
; %bb.200:                              ;   in Loop: Header=BB2_198 Depth=2
	v_cmp_gt_f16_e32 vcc, v10, v14
	v_cndmask_b32_e32 v2, v14, v10, vcc
	s_and_b64 vcc, s[26:27], s[24:25]
	v_cndmask_b32_e32 v2, v2, v47, vcc
	s_or_b64 vcc, s[26:27], s[22:23]
	v_cndmask_b32_e32 v60, v10, v2, vcc
; %bb.201:                              ;   in Loop: Header=BB2_198 Depth=2
	s_or_b64 exec, exec, s[90:91]
	s_mov_b64 s[90:91], 0
.LBB2_202:                              ;   in Loop: Header=BB2_198 Depth=2
	s_andn2_b64 vcc, exec, s[90:91]
	s_cbranch_vccnz .LBB2_206
; %bb.203:                              ;   in Loop: Header=BB2_198 Depth=2
	v_mov_b32_e32 v60, v14
	s_and_saveexec_b64 s[90:91], s[88:89]
; %bb.204:                              ;   in Loop: Header=BB2_198 Depth=2
	v_cmp_gt_f16_e32 vcc, v10, v14
	v_cndmask_b32_e32 v2, v10, v14, vcc
	s_and_b64 vcc, s[26:27], s[24:25]
	v_cndmask_b32_e32 v2, v2, v47, vcc
	s_or_b64 vcc, s[26:27], s[22:23]
	v_cndmask_b32_e32 v60, v10, v2, vcc
; %bb.205:                              ;   in Loop: Header=BB2_198 Depth=2
	s_or_b64 exec, exec, s[90:91]
.LBB2_206:                              ;   in Loop: Header=BB2_198 Depth=2
	v_lshrrev_b32_e32 v14, 16, v14
	v_and_b32_e32 v2, 0x7fff, v14
	v_cmp_gt_u16_e64 s[22:23], s35, v2
	v_cmp_lt_u16_e64 s[24:25], s36, v2
	v_lshrrev_b32_e32 v2, 16, v10
	v_and_b32_e32 v10, 0x7fff, v2
	v_cmp_lt_u16_e64 s[26:27], s36, v10
	s_and_b64 s[88:89], s[26:27], s[22:23]
	s_mov_b64 s[90:91], -1
	s_xor_b64 s[88:89], s[88:89], -1
	s_and_b64 vcc, exec, s[78:79]
                                        ; implicit-def: $vgpr10
	s_cbranch_vccz .LBB2_210
; %bb.207:                              ;   in Loop: Header=BB2_198 Depth=2
	v_mov_b32_e32 v10, v14
	s_and_saveexec_b64 s[90:91], s[88:89]
; %bb.208:                              ;   in Loop: Header=BB2_198 Depth=2
	v_cmp_gt_f16_e32 vcc, v2, v14
	v_cndmask_b32_e32 v10, v14, v2, vcc
	s_and_b64 vcc, s[26:27], s[24:25]
	v_cndmask_b32_e32 v10, v10, v47, vcc
	s_or_b64 vcc, s[26:27], s[22:23]
	v_cndmask_b32_e32 v10, v2, v10, vcc
; %bb.209:                              ;   in Loop: Header=BB2_198 Depth=2
	s_or_b64 exec, exec, s[90:91]
	s_mov_b64 s[90:91], 0
.LBB2_210:                              ;   in Loop: Header=BB2_198 Depth=2
	s_andn2_b64 vcc, exec, s[90:91]
	s_cbranch_vccnz .LBB2_214
; %bb.211:                              ;   in Loop: Header=BB2_198 Depth=2
	s_and_saveexec_b64 s[90:91], s[88:89]
; %bb.212:                              ;   in Loop: Header=BB2_198 Depth=2
	v_cmp_gt_f16_e32 vcc, v2, v14
	v_cndmask_b32_e32 v10, v2, v14, vcc
	s_and_b64 vcc, s[26:27], s[24:25]
	v_cndmask_b32_e32 v10, v10, v47, vcc
	s_or_b64 vcc, s[26:27], s[22:23]
	v_cndmask_b32_e32 v14, v2, v10, vcc
; %bb.213:                              ;   in Loop: Header=BB2_198 Depth=2
	s_or_b64 exec, exec, s[90:91]
	v_mov_b32_e32 v10, v14
.LBB2_214:                              ;   in Loop: Header=BB2_198 Depth=2
	v_and_b32_e32 v2, 0x7fff, v15
	v_cmp_gt_u16_e64 s[22:23], s35, v2
	v_cmp_lt_u16_e64 s[24:25], s36, v2
	v_and_b32_e32 v2, 0x7fff, v11
	v_cmp_lt_u16_e64 s[26:27], s36, v2
	s_and_b64 s[88:89], s[26:27], s[22:23]
	s_mov_b64 s[90:91], -1
	s_xor_b64 s[88:89], s[88:89], -1
	s_and_b64 vcc, exec, s[78:79]
                                        ; implicit-def: $vgpr14
	s_cbranch_vccz .LBB2_218
; %bb.215:                              ;   in Loop: Header=BB2_198 Depth=2
	v_mov_b32_e32 v14, v15
	s_and_saveexec_b64 s[90:91], s[88:89]
; %bb.216:                              ;   in Loop: Header=BB2_198 Depth=2
	v_cmp_gt_f16_e32 vcc, v11, v15
	v_cndmask_b32_e32 v2, v15, v11, vcc
	s_and_b64 vcc, s[26:27], s[24:25]
	v_cndmask_b32_e32 v2, v2, v47, vcc
	s_or_b64 vcc, s[26:27], s[22:23]
	v_cndmask_b32_e32 v14, v11, v2, vcc
; %bb.217:                              ;   in Loop: Header=BB2_198 Depth=2
	s_or_b64 exec, exec, s[90:91]
	s_mov_b64 s[90:91], 0
.LBB2_218:                              ;   in Loop: Header=BB2_198 Depth=2
	s_andn2_b64 vcc, exec, s[90:91]
	s_cbranch_vccnz .LBB2_222
; %bb.219:                              ;   in Loop: Header=BB2_198 Depth=2
	v_mov_b32_e32 v14, v15
	s_and_saveexec_b64 s[90:91], s[88:89]
; %bb.220:                              ;   in Loop: Header=BB2_198 Depth=2
	v_cmp_gt_f16_e32 vcc, v11, v15
	v_cndmask_b32_e32 v2, v11, v15, vcc
	s_and_b64 vcc, s[26:27], s[24:25]
	v_cndmask_b32_e32 v2, v2, v47, vcc
	s_or_b64 vcc, s[26:27], s[22:23]
	v_cndmask_b32_e32 v14, v11, v2, vcc
; %bb.221:                              ;   in Loop: Header=BB2_198 Depth=2
	s_or_b64 exec, exec, s[90:91]
.LBB2_222:                              ;   in Loop: Header=BB2_198 Depth=2
	v_lshrrev_b32_e32 v15, 16, v15
	v_lshrrev_b32_e32 v2, 16, v11
	v_and_b32_e32 v11, 0x7fff, v15
	v_cmp_gt_u16_e64 s[22:23], s35, v11
	v_cmp_lt_u16_e64 s[24:25], s36, v11
	v_and_b32_e32 v11, 0x7fff, v2
	v_cmp_lt_u16_e64 s[26:27], s36, v11
	s_and_b64 s[88:89], s[26:27], s[22:23]
	s_mov_b64 s[90:91], -1
	s_xor_b64 s[88:89], s[88:89], -1
	s_and_b64 vcc, exec, s[78:79]
                                        ; implicit-def: $vgpr11
	s_cbranch_vccz .LBB2_226
; %bb.223:                              ;   in Loop: Header=BB2_198 Depth=2
	v_mov_b32_e32 v11, v15
	s_and_saveexec_b64 s[90:91], s[88:89]
; %bb.224:                              ;   in Loop: Header=BB2_198 Depth=2
	v_cmp_gt_f16_e32 vcc, v2, v15
	v_cndmask_b32_e32 v11, v15, v2, vcc
	s_and_b64 vcc, s[26:27], s[24:25]
	v_cndmask_b32_e32 v11, v11, v47, vcc
	s_or_b64 vcc, s[26:27], s[22:23]
	v_cndmask_b32_e32 v11, v2, v11, vcc
; %bb.225:                              ;   in Loop: Header=BB2_198 Depth=2
	s_or_b64 exec, exec, s[90:91]
	s_mov_b64 s[90:91], 0
.LBB2_226:                              ;   in Loop: Header=BB2_198 Depth=2
	s_andn2_b64 vcc, exec, s[90:91]
	s_cbranch_vccnz .LBB2_230
; %bb.227:                              ;   in Loop: Header=BB2_198 Depth=2
	s_and_saveexec_b64 s[90:91], s[88:89]
; %bb.228:                              ;   in Loop: Header=BB2_198 Depth=2
	v_cmp_gt_f16_e32 vcc, v2, v15
	v_cndmask_b32_e32 v11, v2, v15, vcc
	s_and_b64 vcc, s[26:27], s[24:25]
	v_cndmask_b32_e32 v11, v11, v47, vcc
	s_or_b64 vcc, s[26:27], s[22:23]
	v_cndmask_b32_e32 v15, v2, v11, vcc
; %bb.229:                              ;   in Loop: Header=BB2_198 Depth=2
	s_or_b64 exec, exec, s[90:91]
	v_mov_b32_e32 v11, v15
.LBB2_230:                              ;   in Loop: Header=BB2_198 Depth=2
	v_and_b32_e32 v2, 0x7fff, v16
	v_cmp_gt_u16_e64 s[22:23], s35, v2
	v_cmp_lt_u16_e64 s[24:25], s36, v2
	v_and_b32_e32 v2, 0x7fff, v12
	v_cmp_lt_u16_e64 s[26:27], s36, v2
	s_and_b64 s[88:89], s[26:27], s[22:23]
	s_mov_b64 s[90:91], -1
	s_xor_b64 s[88:89], s[88:89], -1
	s_and_b64 vcc, exec, s[78:79]
                                        ; implicit-def: $vgpr15
	s_cbranch_vccz .LBB2_234
; %bb.231:                              ;   in Loop: Header=BB2_198 Depth=2
	v_mov_b32_e32 v15, v16
	s_and_saveexec_b64 s[90:91], s[88:89]
; %bb.232:                              ;   in Loop: Header=BB2_198 Depth=2
	v_cmp_gt_f16_e32 vcc, v12, v16
	v_cndmask_b32_e32 v2, v16, v12, vcc
	s_and_b64 vcc, s[26:27], s[24:25]
	v_cndmask_b32_e32 v2, v2, v47, vcc
	s_or_b64 vcc, s[26:27], s[22:23]
	v_cndmask_b32_e32 v15, v12, v2, vcc
; %bb.233:                              ;   in Loop: Header=BB2_198 Depth=2
	s_or_b64 exec, exec, s[90:91]
	s_mov_b64 s[90:91], 0
.LBB2_234:                              ;   in Loop: Header=BB2_198 Depth=2
	s_andn2_b64 vcc, exec, s[90:91]
	s_cbranch_vccnz .LBB2_238
; %bb.235:                              ;   in Loop: Header=BB2_198 Depth=2
	v_mov_b32_e32 v15, v16
	s_and_saveexec_b64 s[90:91], s[88:89]
; %bb.236:                              ;   in Loop: Header=BB2_198 Depth=2
	v_cmp_gt_f16_e32 vcc, v12, v16
	v_cndmask_b32_e32 v2, v12, v16, vcc
	s_and_b64 vcc, s[26:27], s[24:25]
	v_cndmask_b32_e32 v2, v2, v47, vcc
	s_or_b64 vcc, s[26:27], s[22:23]
	v_cndmask_b32_e32 v15, v12, v2, vcc
; %bb.237:                              ;   in Loop: Header=BB2_198 Depth=2
	s_or_b64 exec, exec, s[90:91]
.LBB2_238:                              ;   in Loop: Header=BB2_198 Depth=2
	v_lshrrev_b32_e32 v16, 16, v16
	v_lshrrev_b32_e32 v2, 16, v12
	v_and_b32_e32 v12, 0x7fff, v16
	v_cmp_gt_u16_e64 s[22:23], s35, v12
	v_cmp_lt_u16_e64 s[24:25], s36, v12
	v_and_b32_e32 v12, 0x7fff, v2
	v_cmp_lt_u16_e64 s[26:27], s36, v12
	s_and_b64 s[88:89], s[26:27], s[22:23]
	s_mov_b64 s[90:91], -1
	s_xor_b64 s[88:89], s[88:89], -1
	s_and_b64 vcc, exec, s[78:79]
                                        ; implicit-def: $vgpr12
	s_cbranch_vccz .LBB2_242
; %bb.239:                              ;   in Loop: Header=BB2_198 Depth=2
	v_mov_b32_e32 v12, v16
	s_and_saveexec_b64 s[90:91], s[88:89]
; %bb.240:                              ;   in Loop: Header=BB2_198 Depth=2
	v_cmp_gt_f16_e32 vcc, v2, v16
	v_cndmask_b32_e32 v12, v16, v2, vcc
	s_and_b64 vcc, s[26:27], s[24:25]
	v_cndmask_b32_e32 v12, v12, v47, vcc
	s_or_b64 vcc, s[26:27], s[22:23]
	v_cndmask_b32_e32 v12, v2, v12, vcc
; %bb.241:                              ;   in Loop: Header=BB2_198 Depth=2
	s_or_b64 exec, exec, s[90:91]
	s_mov_b64 s[90:91], 0
.LBB2_242:                              ;   in Loop: Header=BB2_198 Depth=2
	s_andn2_b64 vcc, exec, s[90:91]
	s_cbranch_vccnz .LBB2_246
; %bb.243:                              ;   in Loop: Header=BB2_198 Depth=2
	s_and_saveexec_b64 s[90:91], s[88:89]
; %bb.244:                              ;   in Loop: Header=BB2_198 Depth=2
	v_cmp_gt_f16_e32 vcc, v2, v16
	v_cndmask_b32_e32 v12, v2, v16, vcc
	s_and_b64 vcc, s[26:27], s[24:25]
	v_cndmask_b32_e32 v12, v12, v47, vcc
	s_or_b64 vcc, s[26:27], s[22:23]
	v_cndmask_b32_e32 v16, v2, v12, vcc
; %bb.245:                              ;   in Loop: Header=BB2_198 Depth=2
	s_or_b64 exec, exec, s[90:91]
	v_mov_b32_e32 v12, v16
.LBB2_246:                              ;   in Loop: Header=BB2_198 Depth=2
	v_and_b32_e32 v2, 0x7fff, v17
	v_cmp_gt_u16_e64 s[22:23], s35, v2
	v_cmp_lt_u16_e64 s[24:25], s36, v2
	v_and_b32_e32 v2, 0x7fff, v13
	v_cmp_lt_u16_e64 s[26:27], s36, v2
	s_and_b64 s[88:89], s[26:27], s[22:23]
	s_mov_b64 s[90:91], -1
	s_xor_b64 s[88:89], s[88:89], -1
	s_and_b64 vcc, exec, s[78:79]
                                        ; implicit-def: $vgpr16
	s_cbranch_vccz .LBB2_250
; %bb.247:                              ;   in Loop: Header=BB2_198 Depth=2
	v_mov_b32_e32 v16, v17
	s_and_saveexec_b64 s[90:91], s[88:89]
; %bb.248:                              ;   in Loop: Header=BB2_198 Depth=2
	v_cmp_gt_f16_e32 vcc, v13, v17
	v_cndmask_b32_e32 v2, v17, v13, vcc
	s_and_b64 vcc, s[26:27], s[24:25]
	v_cndmask_b32_e32 v2, v2, v47, vcc
	s_or_b64 vcc, s[26:27], s[22:23]
	v_cndmask_b32_e32 v16, v13, v2, vcc
; %bb.249:                              ;   in Loop: Header=BB2_198 Depth=2
	s_or_b64 exec, exec, s[90:91]
	s_mov_b64 s[90:91], 0
.LBB2_250:                              ;   in Loop: Header=BB2_198 Depth=2
	s_andn2_b64 vcc, exec, s[90:91]
	s_cbranch_vccnz .LBB2_254
; %bb.251:                              ;   in Loop: Header=BB2_198 Depth=2
	v_mov_b32_e32 v16, v17
	s_and_saveexec_b64 s[90:91], s[88:89]
; %bb.252:                              ;   in Loop: Header=BB2_198 Depth=2
	v_cmp_gt_f16_e32 vcc, v13, v17
	v_cndmask_b32_e32 v2, v13, v17, vcc
	s_and_b64 vcc, s[26:27], s[24:25]
	v_cndmask_b32_e32 v2, v2, v47, vcc
	s_or_b64 vcc, s[26:27], s[22:23]
	v_cndmask_b32_e32 v16, v13, v2, vcc
; %bb.253:                              ;   in Loop: Header=BB2_198 Depth=2
	s_or_b64 exec, exec, s[90:91]
.LBB2_254:                              ;   in Loop: Header=BB2_198 Depth=2
	v_lshrrev_b32_e32 v2, 16, v13
	v_lshrrev_b32_e32 v13, 16, v17
	v_and_b32_e32 v17, 0x7fff, v13
	v_cmp_gt_u16_e64 s[22:23], s35, v17
	v_cmp_lt_u16_e64 s[24:25], s36, v17
	v_and_b32_e32 v17, 0x7fff, v2
	v_cmp_lt_u16_e64 s[26:27], s36, v17
	s_and_b64 s[88:89], s[26:27], s[22:23]
	s_mov_b64 s[90:91], -1
	s_xor_b64 s[88:89], s[88:89], -1
	s_and_b64 vcc, exec, s[78:79]
                                        ; implicit-def: $vgpr17
	s_cbranch_vccz .LBB2_258
; %bb.255:                              ;   in Loop: Header=BB2_198 Depth=2
	v_mov_b32_e32 v17, v13
	s_and_saveexec_b64 s[90:91], s[88:89]
; %bb.256:                              ;   in Loop: Header=BB2_198 Depth=2
	v_cmp_gt_f16_e32 vcc, v2, v13
	v_cndmask_b32_e32 v17, v13, v2, vcc
	s_and_b64 vcc, s[26:27], s[24:25]
	v_cndmask_b32_e32 v17, v17, v47, vcc
	s_or_b64 vcc, s[26:27], s[22:23]
	v_cndmask_b32_e32 v17, v2, v17, vcc
; %bb.257:                              ;   in Loop: Header=BB2_198 Depth=2
	s_or_b64 exec, exec, s[90:91]
	s_mov_b64 s[90:91], 0
.LBB2_258:                              ;   in Loop: Header=BB2_198 Depth=2
	s_andn2_b64 vcc, exec, s[90:91]
	s_cbranch_vccnz .LBB2_197
; %bb.259:                              ;   in Loop: Header=BB2_198 Depth=2
	s_and_saveexec_b64 s[90:91], s[88:89]
	s_cbranch_execz .LBB2_196
; %bb.260:                              ;   in Loop: Header=BB2_198 Depth=2
	v_cmp_gt_f16_e32 vcc, v2, v13
	v_cndmask_b32_e32 v13, v2, v13, vcc
	s_and_b64 vcc, s[26:27], s[24:25]
	v_cndmask_b32_e32 v13, v13, v47, vcc
	s_or_b64 vcc, s[26:27], s[22:23]
	v_cndmask_b32_e32 v13, v2, v13, vcc
	s_branch .LBB2_196
.LBB2_261:                              ;   in Loop: Header=BB2_49 Depth=1
	s_or_b64 exec, exec, s[76:77]
	v_mov_b32_e32 v53, v21
	v_mov_b32_e32 v54, 1
	;; [unrolled: 1-line block ×4, first 2 shown]
.LBB2_262:                              ;   in Loop: Header=BB2_49 Depth=1
	s_or_b64 exec, exec, s[74:75]
	v_and_b32_e32 v2, 14, v3
	v_sub_u32_e32 v3, v61, v2
	v_cndmask_b32_e64 v3, 0, v3, s[20:21]
	v_cmp_lt_i32_e32 vcc, 0, v31
	v_add3_u32 v16, v30, v18, v3
	v_cndmask_b32_e64 v2, v61, v2, s[20:21]
	v_cndmask_b32_e32 v3, 0, v46, vcc
	v_sub_u32_e32 v3, v3, v31
	v_cmp_ne_u32_e32 vcc, 0, v2
	v_lshl_add_u32 v17, v3, 6, v55
	s_and_b64 s[22:23], vcc, exec
	v_mov_b32_e32 v62, v34
.LBB2_263:                              ;   in Loop: Header=BB2_49 Depth=1
	s_or_b64 exec, exec, s[72:73]
	s_and_saveexec_b64 s[72:73], s[22:23]
	s_cbranch_execz .LBB2_328
.LBB2_264:                              ;   in Loop: Header=BB2_49 Depth=1
	v_ashrrev_i32_e32 v3, 31, v17
	v_ashrrev_i32_e32 v11, 31, v2
	v_lshrrev_b32_e32 v3, 26, v3
	v_lshrrev_b32_e32 v11, 23, v11
	v_add_u32_e32 v10, v17, v3
	v_add_u32_e32 v11, v2, v11
	v_ashrrev_i32_e32 v3, 6, v10
	v_ashrrev_i32_e32 v31, 9, v11
	v_sub_u32_e32 v30, v31, v3
	v_cmp_lt_i32_e32 vcc, 0, v30
	s_and_saveexec_b64 s[74:75], vcc
	s_cbranch_execz .LBB2_316
; %bb.265:                              ;   in Loop: Header=BB2_49 Depth=1
	v_and_b32_e32 v10, 0x7fffffc0, v10
	v_sub_u32_e32 v10, v17, v10
	s_trap 2
	ds_read_b64 v[12:13], v0
	v_lshlrev_b32_e32 v10, 1, v10
	v_lshlrev_b32_e32 v11, 9, v3
	v_add3_u32 v14, v10, v16, v11
	v_ashrrev_i32_e32 v15, 31, v14
	v_add_co_u32_e32 v10, vcc, v14, v49
	v_addc_co_u32_e32 v11, vcc, v15, v50, vcc
	s_waitcnt lgkmcnt(0)
	v_add_co_u32_e32 v12, vcc, v12, v14
	v_addc_co_u32_e32 v13, vcc, v13, v15, vcc
	v_add_co_u32_e32 v14, vcc, v14, v51
	s_bitcmp1_b32 s94, 0
	v_addc_co_u32_e32 v15, vcc, v15, v52, vcc
	s_mov_b64 s[76:77], 0
	s_cselect_b64 s[78:79], -1, 0
	s_branch .LBB2_269
.LBB2_266:                              ;   in Loop: Header=BB2_269 Depth=2
	s_or_b64 exec, exec, s[24:25]
	v_mov_b32_e32 v54, v53
.LBB2_267:                              ;   in Loop: Header=BB2_269 Depth=2
	s_or_b64 exec, exec, s[88:89]
	v_mov_b32_e32 v41, v54
.LBB2_268:                              ;   in Loop: Header=BB2_269 Depth=2
	v_add_co_u32_e32 v10, vcc, v10, v58
	v_addc_co_u32_e32 v11, vcc, 0, v11, vcc
	v_add_co_u32_e32 v12, vcc, v12, v58
	v_addc_co_u32_e32 v13, vcc, 0, v13, vcc
	v_sub_u32_e32 v30, v30, v46
	v_cmp_gt_i32_e32 vcc, 1, v30
	flat_store_short v[14:15], v40 glc slc
	flat_store_short v[14:15], v60 offset:128 glc slc
	flat_store_short v[14:15], v42 offset:256 glc slc
	;; [unrolled: 1-line block ×3, first 2 shown]
	s_or_b64 s[76:77], vcc, s[76:77]
	v_add_co_u32_e32 v14, vcc, v14, v58
	v_addc_co_u32_e32 v15, vcc, 0, v15, vcc
	s_andn2_b64 exec, exec, s[76:77]
	s_cbranch_execz .LBB2_315
.LBB2_269:                              ;   Parent Loop BB2_49 Depth=1
                                        ; =>  This Inner Loop Header: Depth=2
	flat_load_ushort v60, v[10:11] glc slc
	flat_load_ushort v42, v[10:11] offset:128 glc slc
	flat_load_ushort v55, v[10:11] offset:256 glc slc
	;; [unrolled: 1-line block ×3, first 2 shown]
	flat_load_ushort v61, v[12:13] glc slc
	flat_load_ushort v43, v[12:13] offset:128 glc slc
	flat_load_ushort v41, v[12:13] offset:256 glc slc
	;; [unrolled: 1-line block ×3, first 2 shown]
	s_mov_b64 s[24:25], -1
	s_and_b64 vcc, exec, s[78:79]
                                        ; implicit-def: $vgpr40
	s_waitcnt vmcnt(0) lgkmcnt(0)
	v_and_b32_e32 v18, 0x7fff, v60
	v_cmp_lt_u16_e64 s[20:21], s36, v18
	v_and_b32_e32 v62, 0x7fff, v61
	v_cmp_gt_u16_e64 s[22:23], s35, v62
	s_and_b64 s[26:27], s[20:21], s[22:23]
	s_xor_b64 s[26:27], s[26:27], -1
	s_cbranch_vccz .LBB2_275
; %bb.270:                              ;   in Loop: Header=BB2_269 Depth=2
	v_mov_b32_e32 v40, v61
	s_and_saveexec_b64 s[88:89], s[26:27]
	s_cbranch_execz .LBB2_274
; %bb.271:                              ;   in Loop: Header=BB2_269 Depth=2
	s_or_b64 s[24:25], s[20:21], s[22:23]
	v_mov_b32_e32 v40, v60
	s_and_saveexec_b64 s[90:91], s[24:25]
; %bb.272:                              ;   in Loop: Header=BB2_269 Depth=2
	v_cmp_lt_u16_e32 vcc, s36, v62
	v_cmp_gt_f16_e64 s[24:25], v60, v61
	v_cndmask_b32_e64 v18, v61, v60, s[24:25]
	s_and_b64 vcc, s[20:21], vcc
	v_cndmask_b32_e32 v40, v18, v47, vcc
; %bb.273:                              ;   in Loop: Header=BB2_269 Depth=2
	s_or_b64 exec, exec, s[90:91]
.LBB2_274:                              ;   in Loop: Header=BB2_269 Depth=2
	s_or_b64 exec, exec, s[88:89]
	s_mov_b64 s[24:25], 0
.LBB2_275:                              ;   in Loop: Header=BB2_269 Depth=2
	s_andn2_b64 vcc, exec, s[24:25]
	s_cbranch_vccnz .LBB2_281
; %bb.276:                              ;   in Loop: Header=BB2_269 Depth=2
	s_and_saveexec_b64 s[24:25], s[26:27]
	s_cbranch_execz .LBB2_280
; %bb.277:                              ;   in Loop: Header=BB2_269 Depth=2
	s_or_b64 s[22:23], s[20:21], s[22:23]
	s_and_saveexec_b64 s[26:27], s[22:23]
; %bb.278:                              ;   in Loop: Header=BB2_269 Depth=2
	v_cmp_lt_u16_e32 vcc, s36, v62
	v_cmp_gt_f16_e64 s[22:23], v60, v61
	v_cndmask_b32_e64 v18, v60, v61, s[22:23]
	s_and_b64 vcc, s[20:21], vcc
	v_cndmask_b32_e32 v60, v18, v47, vcc
; %bb.279:                              ;   in Loop: Header=BB2_269 Depth=2
	s_or_b64 exec, exec, s[26:27]
	v_mov_b32_e32 v61, v60
.LBB2_280:                              ;   in Loop: Header=BB2_269 Depth=2
	s_or_b64 exec, exec, s[24:25]
	v_mov_b32_e32 v40, v61
.LBB2_281:                              ;   in Loop: Header=BB2_269 Depth=2
	v_and_b32_e32 v18, 0x7fff, v42
	v_and_b32_e32 v61, 0x7fff, v43
	v_cmp_lt_u16_e64 s[22:23], s36, v18
	v_cmp_gt_u16_e64 s[24:25], s35, v61
	s_and_b64 s[20:21], s[22:23], s[24:25]
	v_cndmask_b32_e64 v18, 0, 1, s[78:79]
	s_mov_b64 s[26:27], -1
	s_xor_b64 s[88:89], s[20:21], -1
	v_cmp_ne_u32_e64 s[20:21], 1, v18
	s_andn2_b64 vcc, exec, s[78:79]
                                        ; implicit-def: $vgpr60
	s_cbranch_vccnz .LBB2_287
; %bb.282:                              ;   in Loop: Header=BB2_269 Depth=2
	v_mov_b32_e32 v60, v43
	s_and_saveexec_b64 s[90:91], s[88:89]
	s_cbranch_execz .LBB2_286
; %bb.283:                              ;   in Loop: Header=BB2_269 Depth=2
	s_or_b64 s[26:27], s[22:23], s[24:25]
	v_mov_b32_e32 v60, v42
	s_and_saveexec_b64 s[92:93], s[26:27]
; %bb.284:                              ;   in Loop: Header=BB2_269 Depth=2
	v_cmp_lt_u16_e32 vcc, s36, v61
	v_cmp_gt_f16_e64 s[26:27], v42, v43
	v_cndmask_b32_e64 v18, v43, v42, s[26:27]
	s_and_b64 vcc, s[22:23], vcc
	v_cndmask_b32_e32 v60, v18, v47, vcc
; %bb.285:                              ;   in Loop: Header=BB2_269 Depth=2
	s_or_b64 exec, exec, s[92:93]
.LBB2_286:                              ;   in Loop: Header=BB2_269 Depth=2
	s_or_b64 exec, exec, s[90:91]
	s_mov_b64 s[26:27], 0
.LBB2_287:                              ;   in Loop: Header=BB2_269 Depth=2
	s_andn2_b64 vcc, exec, s[26:27]
	s_cbranch_vccnz .LBB2_293
; %bb.288:                              ;   in Loop: Header=BB2_269 Depth=2
	s_and_saveexec_b64 s[26:27], s[88:89]
	s_cbranch_execz .LBB2_292
; %bb.289:                              ;   in Loop: Header=BB2_269 Depth=2
	s_or_b64 s[24:25], s[22:23], s[24:25]
	s_and_saveexec_b64 s[88:89], s[24:25]
; %bb.290:                              ;   in Loop: Header=BB2_269 Depth=2
	v_cmp_lt_u16_e32 vcc, s36, v61
	v_cmp_gt_f16_e64 s[24:25], v42, v43
	v_cndmask_b32_e64 v18, v42, v43, s[24:25]
	s_and_b64 vcc, s[22:23], vcc
	v_cndmask_b32_e32 v42, v18, v47, vcc
; %bb.291:                              ;   in Loop: Header=BB2_269 Depth=2
	s_or_b64 exec, exec, s[88:89]
	v_mov_b32_e32 v43, v42
.LBB2_292:                              ;   in Loop: Header=BB2_269 Depth=2
	s_or_b64 exec, exec, s[26:27]
	v_mov_b32_e32 v60, v43
.LBB2_293:                              ;   in Loop: Header=BB2_269 Depth=2
	v_and_b32_e32 v18, 0x7fff, v55
	v_and_b32_e32 v43, 0x7fff, v41
	v_cmp_lt_u16_e64 s[22:23], s36, v18
	v_cmp_gt_u16_e64 s[24:25], s35, v43
	s_and_b64 s[88:89], s[22:23], s[24:25]
	s_mov_b64 s[26:27], -1
	s_and_b64 vcc, exec, s[20:21]
	s_xor_b64 s[88:89], s[88:89], -1
                                        ; implicit-def: $vgpr42
	s_cbranch_vccnz .LBB2_299
; %bb.294:                              ;   in Loop: Header=BB2_269 Depth=2
	v_mov_b32_e32 v42, v41
	s_and_saveexec_b64 s[90:91], s[88:89]
	s_cbranch_execz .LBB2_298
; %bb.295:                              ;   in Loop: Header=BB2_269 Depth=2
	s_or_b64 s[26:27], s[22:23], s[24:25]
	v_mov_b32_e32 v42, v55
	s_and_saveexec_b64 s[92:93], s[26:27]
; %bb.296:                              ;   in Loop: Header=BB2_269 Depth=2
	v_cmp_lt_u16_e32 vcc, s36, v43
	v_cmp_gt_f16_e64 s[26:27], v55, v41
	v_cndmask_b32_e64 v18, v41, v55, s[26:27]
	s_and_b64 vcc, s[22:23], vcc
	v_cndmask_b32_e32 v42, v18, v47, vcc
; %bb.297:                              ;   in Loop: Header=BB2_269 Depth=2
	s_or_b64 exec, exec, s[92:93]
.LBB2_298:                              ;   in Loop: Header=BB2_269 Depth=2
	s_or_b64 exec, exec, s[90:91]
	s_mov_b64 s[26:27], 0
.LBB2_299:                              ;   in Loop: Header=BB2_269 Depth=2
	s_andn2_b64 vcc, exec, s[26:27]
	s_cbranch_vccnz .LBB2_305
; %bb.300:                              ;   in Loop: Header=BB2_269 Depth=2
	s_and_saveexec_b64 s[26:27], s[88:89]
	s_cbranch_execz .LBB2_304
; %bb.301:                              ;   in Loop: Header=BB2_269 Depth=2
	s_or_b64 s[24:25], s[22:23], s[24:25]
	s_and_saveexec_b64 s[88:89], s[24:25]
; %bb.302:                              ;   in Loop: Header=BB2_269 Depth=2
	v_cmp_lt_u16_e32 vcc, s36, v43
	v_cmp_gt_f16_e64 s[24:25], v55, v41
	v_cndmask_b32_e64 v18, v55, v41, s[24:25]
	s_and_b64 vcc, s[22:23], vcc
	v_cndmask_b32_e32 v55, v18, v47, vcc
; %bb.303:                              ;   in Loop: Header=BB2_269 Depth=2
	s_or_b64 exec, exec, s[88:89]
	v_mov_b32_e32 v41, v55
.LBB2_304:                              ;   in Loop: Header=BB2_269 Depth=2
	s_or_b64 exec, exec, s[26:27]
	v_mov_b32_e32 v42, v41
.LBB2_305:                              ;   in Loop: Header=BB2_269 Depth=2
	v_and_b32_e32 v18, 0x7fff, v53
	v_and_b32_e32 v55, 0x7fff, v54
	v_cmp_lt_u16_e64 s[22:23], s36, v18
	v_cmp_gt_u16_e64 s[24:25], s35, v55
	s_and_b64 s[26:27], s[22:23], s[24:25]
	s_mov_b64 s[88:89], -1
	s_and_b64 vcc, exec, s[20:21]
	s_xor_b64 s[26:27], s[26:27], -1
                                        ; implicit-def: $vgpr41
	s_cbranch_vccnz .LBB2_311
; %bb.306:                              ;   in Loop: Header=BB2_269 Depth=2
	v_mov_b32_e32 v41, v54
	s_and_saveexec_b64 s[88:89], s[26:27]
	s_cbranch_execz .LBB2_310
; %bb.307:                              ;   in Loop: Header=BB2_269 Depth=2
	s_or_b64 s[20:21], s[22:23], s[24:25]
	v_mov_b32_e32 v41, v53
	s_and_saveexec_b64 s[90:91], s[20:21]
; %bb.308:                              ;   in Loop: Header=BB2_269 Depth=2
	v_cmp_lt_u16_e32 vcc, s36, v55
	v_cmp_gt_f16_e64 s[20:21], v53, v54
	v_cndmask_b32_e64 v18, v54, v53, s[20:21]
	s_and_b64 vcc, s[22:23], vcc
	v_cndmask_b32_e32 v41, v18, v47, vcc
; %bb.309:                              ;   in Loop: Header=BB2_269 Depth=2
	s_or_b64 exec, exec, s[90:91]
.LBB2_310:                              ;   in Loop: Header=BB2_269 Depth=2
	s_or_b64 exec, exec, s[88:89]
	s_mov_b64 s[88:89], 0
.LBB2_311:                              ;   in Loop: Header=BB2_269 Depth=2
	s_andn2_b64 vcc, exec, s[88:89]
	s_cbranch_vccnz .LBB2_268
; %bb.312:                              ;   in Loop: Header=BB2_269 Depth=2
	s_and_saveexec_b64 s[88:89], s[26:27]
	s_cbranch_execz .LBB2_267
; %bb.313:                              ;   in Loop: Header=BB2_269 Depth=2
	s_or_b64 s[20:21], s[22:23], s[24:25]
	s_and_saveexec_b64 s[24:25], s[20:21]
	s_cbranch_execz .LBB2_266
; %bb.314:                              ;   in Loop: Header=BB2_269 Depth=2
	v_cmp_lt_u16_e32 vcc, s36, v55
	v_cmp_gt_f16_e64 s[20:21], v53, v54
	v_cndmask_b32_e64 v18, v53, v54, s[20:21]
	s_and_b64 vcc, s[22:23], vcc
	v_cndmask_b32_e32 v53, v18, v47, vcc
	s_branch .LBB2_266
.LBB2_315:                              ;   in Loop: Header=BB2_49 Depth=1
	s_or_b64 exec, exec, s[76:77]
	v_mov_b32_e32 v62, v34
	v_mov_b32_e32 v53, v21
	;; [unrolled: 1-line block ×5, first 2 shown]
.LBB2_316:                              ;   in Loop: Header=BB2_49 Depth=1
	s_or_b64 exec, exec, s[74:75]
	v_lshlrev_b32_e32 v10, 9, v31
	v_cmp_ne_u32_e32 vcc, v2, v10
	s_and_b64 exec, exec, vcc
	s_cbranch_execz .LBB2_328
; %bb.317:                              ;   in Loop: Header=BB2_49 Depth=1
	v_lshlrev_b32_e32 v3, 6, v3
	v_sub_u32_e32 v3, v17, v3
	v_lshlrev_b32_e32 v11, 6, v30
	v_sub_u32_e32 v3, v3, v11
	v_ashrrev_i32_e32 v11, 31, v3
	v_lshrrev_b32_e32 v11, 26, v11
	v_add_u32_e32 v11, v3, v11
	v_and_b32_e32 v12, 0x7fffffc0, v11
	v_sub_u32_e32 v3, v3, v12
	v_lshlrev_b32_e32 v11, 1, v11
	v_and_b32_e32 v11, 0xffffff80, v11
	v_lshlrev_b32_e32 v3, 1, v3
	v_add3_u32 v3, v11, v3, v10
	v_sub_u32_e32 v2, v2, v3
	v_cmp_lt_i32_e32 vcc, 1, v2
	s_and_b64 exec, exec, vcc
	s_cbranch_execz .LBB2_328
; %bb.318:                              ;   in Loop: Header=BB2_49 Depth=1
	s_trap 2
	ds_read_b64 v[12:13], v0
	v_add_u32_e32 v3, v3, v16
	v_ashrrev_i32_e32 v15, 31, v3
	v_add_co_u32_e32 v10, vcc, v3, v49
	v_addc_co_u32_e32 v11, vcc, v15, v50, vcc
	s_waitcnt lgkmcnt(0)
	v_add_co_u32_e32 v12, vcc, v12, v3
	v_addc_co_u32_e32 v13, vcc, v13, v15, vcc
	v_add_co_u32_e32 v14, vcc, v3, v51
	s_bitcmp1_b32 s94, 0
	v_addc_co_u32_e32 v15, vcc, v15, v52, vcc
	s_mov_b64 s[26:27], 0
	s_cselect_b64 s[74:75], -1, 0
	s_branch .LBB2_321
.LBB2_319:                              ;   in Loop: Header=BB2_321 Depth=2
	s_or_b64 exec, exec, s[78:79]
	v_mov_b32_e32 v17, v3
.LBB2_320:                              ;   in Loop: Header=BB2_321 Depth=2
	v_add_co_u32_e32 v10, vcc, v10, v59
	v_addc_co_u32_e32 v11, vcc, 0, v11, vcc
	v_add_co_u32_e32 v12, vcc, v12, v59
	v_addc_co_u32_e32 v13, vcc, 0, v13, vcc
	v_sub_u32_e32 v2, v2, v59
	v_cmp_gt_i32_e32 vcc, 2, v2
	flat_store_short v[14:15], v17 glc slc
	s_or_b64 s[26:27], vcc, s[26:27]
	v_add_co_u32_e32 v14, vcc, v14, v59
	v_addc_co_u32_e32 v15, vcc, 0, v15, vcc
	s_andn2_b64 exec, exec, s[26:27]
	s_cbranch_execz .LBB2_328
.LBB2_321:                              ;   Parent Loop BB2_49 Depth=1
                                        ; =>  This Inner Loop Header: Depth=2
	flat_load_ushort v3, v[12:13] glc slc
	flat_load_ushort v16, v[10:11] glc slc
	s_mov_b64 s[78:79], -1
	s_and_b64 vcc, exec, s[74:75]
                                        ; implicit-def: $vgpr17
	s_waitcnt vmcnt(0) lgkmcnt(0)
	v_and_b32_e32 v18, 0x7fff, v3
	v_and_b32_e32 v19, 0x7fff, v16
	v_cmp_gt_u16_e64 s[20:21], s35, v18
	v_cmp_lt_u16_e64 s[22:23], s36, v19
	s_and_b64 s[76:77], s[22:23], s[20:21]
	v_cmp_lt_u16_e64 s[24:25], s36, v18
	s_xor_b64 s[76:77], s[76:77], -1
	s_cbranch_vccz .LBB2_325
; %bb.322:                              ;   in Loop: Header=BB2_321 Depth=2
	v_mov_b32_e32 v17, v3
	s_and_saveexec_b64 s[78:79], s[76:77]
; %bb.323:                              ;   in Loop: Header=BB2_321 Depth=2
	v_cmp_gt_f16_e32 vcc, v16, v3
	v_cndmask_b32_e32 v17, v3, v16, vcc
	s_and_b64 vcc, s[22:23], s[24:25]
	v_cndmask_b32_e32 v17, v17, v47, vcc
	s_or_b64 vcc, s[22:23], s[20:21]
	v_cndmask_b32_e32 v17, v16, v17, vcc
; %bb.324:                              ;   in Loop: Header=BB2_321 Depth=2
	s_or_b64 exec, exec, s[78:79]
	s_mov_b64 s[78:79], 0
.LBB2_325:                              ;   in Loop: Header=BB2_321 Depth=2
	s_andn2_b64 vcc, exec, s[78:79]
	s_cbranch_vccnz .LBB2_320
; %bb.326:                              ;   in Loop: Header=BB2_321 Depth=2
	s_and_saveexec_b64 s[78:79], s[76:77]
	s_cbranch_execz .LBB2_319
; %bb.327:                              ;   in Loop: Header=BB2_321 Depth=2
	v_cmp_gt_f16_e32 vcc, v16, v3
	v_cndmask_b32_e32 v3, v16, v3, vcc
	s_and_b64 vcc, s[22:23], s[24:25]
	v_cndmask_b32_e32 v3, v3, v47, vcc
	s_or_b64 vcc, s[22:23], s[20:21]
	v_cndmask_b32_e32 v3, v16, v3, vcc
	s_branch .LBB2_319
.LBB2_328:                              ;   in Loop: Header=BB2_49 Depth=1
	s_or_b64 exec, exec, s[72:73]
	v_cmp_ne_u32_e64 s[20:21], 0, v37
	s_and_saveexec_b64 s[22:23], s[10:11]
	s_cbranch_execz .LBB2_347
.LBB2_329:                              ;   in Loop: Header=BB2_49 Depth=1
	s_and_saveexec_b64 s[24:25], s[46:47]
	s_xor_b64 s[24:25], exec, s[24:25]
	s_cbranch_execz .LBB2_344
; %bb.330:                              ;   in Loop: Header=BB2_49 Depth=1
	s_and_saveexec_b64 s[26:27], s[12:13]
	s_cbranch_execz .LBB2_343
; %bb.331:                              ;   in Loop: Header=BB2_49 Depth=1
	s_mov_b64 s[74:75], exec
	v_mbcnt_lo_u32_b32 v2, s74, 0
	v_mbcnt_hi_u32_b32 v2, s75, v2
	v_cmp_eq_u32_e32 vcc, 0, v2
	s_waitcnt vmcnt(0) lgkmcnt(0)
	buffer_wbinvl1_vol
	s_and_saveexec_b64 s[72:73], vcc
	s_cbranch_execz .LBB2_333
; %bb.332:                              ;   in Loop: Header=BB2_49 Depth=1
	s_bcnt1_i32_b64 s74, s[74:75]
	v_mov_b32_e32 v2, s74
	v_mov_b32_e32 v3, v36
	ds_add_u64 v0, v[2:3]
	s_trap 2
.LBB2_333:                              ;   in Loop: Header=BB2_49 Depth=1
	s_or_b64 exec, exec, s[72:73]
	s_trap 2
	ds_read_b64 v[2:3], v0
	s_waitcnt lgkmcnt(0)
	v_add_co_u32_e32 v26, vcc, v26, v46
	v_addc_co_u32_e32 v27, vcc, 0, v27, vcc
	v_cmp_lt_u64_e32 vcc, v[2:3], v[26:27]
	s_and_saveexec_b64 s[72:73], vcc
	s_cbranch_execz .LBB2_342
; %bb.334:                              ;   in Loop: Header=BB2_49 Depth=1
	s_mov_b32 s94, 0
	s_mov_b64 s[74:75], 0
                                        ; implicit-def: $sgpr76_sgpr77
                                        ; implicit-def: $sgpr78_sgpr79
	s_branch .LBB2_336
.LBB2_335:                              ;   in Loop: Header=BB2_336 Depth=2
	s_or_b64 exec, exec, s[90:91]
	s_and_b64 s[88:89], exec, s[92:93]
	s_or_b64 s[74:75], s[88:89], s[74:75]
	s_andn2_b64 s[76:77], s[76:77], exec
	s_and_b64 s[88:89], s[78:79], exec
	s_or_b64 s[76:77], s[76:77], s[88:89]
	s_andn2_b64 exec, exec, s[74:75]
	s_cbranch_execz .LBB2_340
.LBB2_336:                              ;   Parent Loop BB2_49 Depth=1
                                        ; =>  This Inner Loop Header: Depth=2
	s_add_i32 s94, s94, 1
	s_cmpk_lg_i32 s94, 0x2710
	s_cselect_b64 s[88:89], -1, 0
	s_and_b64 vcc, exec, s[88:89]
	s_cbranch_vccz .LBB2_338
; %bb.337:                              ;   in Loop: Header=BB2_336 Depth=2
	s_mov_b64 s[92:93], -1
	s_or_b64 s[78:79], s[78:79], exec
	s_and_saveexec_b64 s[90:91], s[88:89]
	s_cbranch_execz .LBB2_335
	s_branch .LBB2_339
.LBB2_338:                              ;   in Loop: Header=BB2_336 Depth=2
	s_trap 2
	ds_read_b64 v[2:3], v0
	s_andn2_b64 s[88:89], s[88:89], exec
	s_mov_b32 s94, 0
	s_waitcnt lgkmcnt(0)
	flat_load_dword v2, v[2:3] glc
	s_waitcnt vmcnt(0) lgkmcnt(0)
	buffer_wbinvl1_vol
	v_cmp_eq_u32_e32 vcc, 0, v2
	s_and_b64 s[90:91], vcc, exec
	s_or_b64 s[88:89], s[88:89], s[90:91]
	s_mov_b64 s[92:93], -1
	s_or_b64 s[78:79], s[78:79], exec
	s_and_saveexec_b64 s[90:91], s[88:89]
	s_cbranch_execz .LBB2_335
.LBB2_339:                              ;   in Loop: Header=BB2_336 Depth=2
	s_sleep 1
	s_trap 2
	ds_read_b64 v[2:3], v0
	s_waitcnt lgkmcnt(0)
	s_andn2_b64 s[78:79], s[78:79], exec
	v_cmp_ge_u64_e32 vcc, v[2:3], v[26:27]
	s_orn2_b64 s[92:93], vcc, exec
	s_branch .LBB2_335
.LBB2_340:                              ;   in Loop: Header=BB2_49 Depth=1
	s_or_b64 exec, exec, s[74:75]
	s_and_saveexec_b64 s[74:75], s[76:77]
	s_xor_b64 s[74:75], exec, s[74:75]
	s_cbranch_execz .LBB2_342
; %bb.341:                              ;   in Loop: Header=BB2_49 Depth=1
	ds_write_b32 v0, v54
	s_trap 2
.LBB2_342:                              ;   in Loop: Header=BB2_49 Depth=1
	s_or_b64 exec, exec, s[72:73]
	;;#ASMSTART
	s_wakeup
	;;#ASMEND
.LBB2_343:                              ;   in Loop: Header=BB2_49 Depth=1
	s_or_b64 exec, exec, s[26:27]
.LBB2_344:                              ;   in Loop: Header=BB2_49 Depth=1
	s_andn2_saveexec_b64 s[24:25], s[24:25]
	s_cbranch_execz .LBB2_346
; %bb.345:                              ;   in Loop: Header=BB2_49 Depth=1
	s_waitcnt vmcnt(0) lgkmcnt(0)
	buffer_wbinvl1_vol
	s_barrier
.LBB2_346:                              ;   in Loop: Header=BB2_49 Depth=1
	s_or_b64 exec, exec, s[24:25]
.LBB2_347:                              ;   in Loop: Header=BB2_49 Depth=1
	s_or_b64 exec, exec, s[22:23]
	v_and_b32_e32 v2, 16, v44
	v_cmp_ne_u32_e32 vcc, 0, v2
	s_and_b64 s[22:23], vcc, s[20:21]
	s_and_saveexec_b64 s[20:21], s[22:23]
	s_cbranch_execz .LBB2_349
; %bb.348:                              ;   in Loop: Header=BB2_49 Depth=1
	s_waitcnt vmcnt(0) lgkmcnt(0)
	buffer_wbinvl1_vol
.LBB2_349:                              ;   in Loop: Header=BB2_49 Depth=1
	s_or_b64 exec, exec, s[20:21]
	v_cmp_ne_u32_e32 vcc, 0, v2
	s_xor_b64 s[20:21], s[18:19], -1
	s_and_b64 s[22:23], vcc, s[20:21]
	s_and_saveexec_b64 s[20:21], s[22:23]
	s_cbranch_execz .LBB2_351
; %bb.350:                              ;   in Loop: Header=BB2_49 Depth=1
	buffer_load_dword v2, off, s[0:3], s33 offset:60 ; 4-byte Folded Reload
	buffer_load_dword v3, off, s[0:3], s33 offset:64 ; 4-byte Folded Reload
	s_waitcnt vmcnt(0)
	flat_store_dword v[2:3], v54
.LBB2_351:                              ;   in Loop: Header=BB2_49 Depth=1
	s_or_b64 exec, exec, s[20:21]
	v_and_b32_e32 v2, 48, v44
	v_cmp_ne_u32_e32 vcc, 0, v2
	s_and_saveexec_b64 s[20:21], vcc
	s_cbranch_execz .LBB2_353
; %bb.352:                              ;   in Loop: Header=BB2_49 Depth=1
	v_add_co_u32_e32 v8, vcc, 1, v8
	v_addc_co_u32_e32 v9, vcc, 0, v9, vcc
	flat_store_dwordx2 v[22:23], v[8:9]
.LBB2_353:                              ;   in Loop: Header=BB2_49 Depth=1
	s_or_b64 exec, exec, s[20:21]
	v_mov_b32_e32 v2, v56
.LBB2_354:                              ;   in Loop: Header=BB2_49 Depth=1
	s_or_b64 exec, exec, s[62:63]
	s_and_saveexec_b64 s[22:23], s[60:61]
	s_cbranch_execz .LBB2_48
; %bb.355:                              ;   in Loop: Header=BB2_49 Depth=1
	v_sub_u32_e32 v2, v48, v2
	v_min_i32_e32 v10, v56, v2
	v_and_b32_e32 v2, 12, v44
	v_cmp_ne_u32_e32 vcc, 0, v2
	s_and_saveexec_b64 s[24:25], vcc
	s_cbranch_execz .LBB2_381
; %bb.356:                              ;   in Loop: Header=BB2_49 Depth=1
	v_and_b32_e32 v2, 8, v44
	s_waitcnt vmcnt(0)
	v_add_co_u32_e32 v14, vcc, v28, v2
	v_addc_co_u32_e32 v15, vcc, 0, v29, vcc
	s_waitcnt lgkmcnt(0)
	v_add_co_u32_e32 v12, vcc, 1, v8
	v_addc_co_u32_e32 v13, vcc, 0, v9, vcc
	v_cmp_lt_u64_e32 vcc, v[14:15], v[12:13]
	s_and_saveexec_b64 s[26:27], vcc
	s_cbranch_execz .LBB2_368
; %bb.357:                              ;   in Loop: Header=BB2_49 Depth=1
	v_and_b32_e32 v3, 64, v44
	s_mov_b32 s94, 0
	v_cmp_eq_u32_e32 vcc, 0, v3
	s_mov_b64 s[60:61], 0
                                        ; implicit-def: $sgpr62_sgpr63
                                        ; implicit-def: $sgpr72_sgpr73
                                        ; implicit-def: $sgpr74_sgpr75
	s_branch .LBB2_361
.LBB2_358:                              ;   in Loop: Header=BB2_361 Depth=2
	s_waitcnt vmcnt(0) lgkmcnt(0)
	v_add_co_u32_e64 v14, s[20:21], v28, v2
	v_addc_co_u32_e64 v15, s[20:21], 0, v29, s[20:21]
	v_cmp_ge_u64_e64 s[20:21], v[14:15], v[12:13]
	s_or_b64 s[88:89], s[88:89], exec
	s_orn2_b64 s[78:79], s[20:21], exec
.LBB2_359:                              ;   in Loop: Header=BB2_361 Depth=2
	s_or_b64 exec, exec, s[92:93]
	s_andn2_b64 s[20:21], s[74:75], exec
	s_and_b64 s[74:75], s[88:89], exec
	s_or_b64 s[74:75], s[20:21], s[74:75]
	s_andn2_b64 s[20:21], s[72:73], exec
	s_and_b64 s[72:73], s[78:79], exec
	s_or_b64 s[72:73], s[20:21], s[72:73]
.LBB2_360:                              ;   in Loop: Header=BB2_361 Depth=2
	s_or_b64 exec, exec, s[76:77]
	s_and_b64 s[20:21], exec, s[72:73]
	s_or_b64 s[60:61], s[20:21], s[60:61]
	s_andn2_b64 s[20:21], s[62:63], exec
	s_and_b64 s[62:63], s[74:75], exec
	s_or_b64 s[62:63], s[20:21], s[62:63]
	s_andn2_b64 exec, exec, s[60:61]
	s_cbranch_execz .LBB2_365
.LBB2_361:                              ;   Parent Loop BB2_49 Depth=1
                                        ; =>  This Inner Loop Header: Depth=2
	s_sleep 1
	s_waitcnt vmcnt(0) lgkmcnt(0)
	flat_load_dwordx2 v[28:29], v[22:23] glc
	s_or_b64 s[74:75], s[74:75], exec
	s_or_b64 s[72:73], s[72:73], exec
                                        ; implicit-def: $vgpr3
	s_and_saveexec_b64 s[76:77], vcc
	s_cbranch_execz .LBB2_360
; %bb.362:                              ;   in Loop: Header=BB2_361 Depth=2
	s_cmpk_lt_i32 s94, 0x270f
	s_cselect_b64 s[90:91], -1, 0
	s_cmpk_gt_i32 s94, 0x270e
	s_mov_b64 s[78:79], -1
	s_cbranch_scc0 .LBB2_364
; %bb.363:                              ;   in Loop: Header=BB2_361 Depth=2
	s_trap 2
	ds_read_b64 v[14:15], v0
	s_andn2_b64 s[90:91], s[90:91], exec
	s_mov_b32 s94, 0
	s_mov_b64 s[88:89], 0
	s_waitcnt vmcnt(0) lgkmcnt(0)
	flat_load_dword v3, v[14:15] glc
	s_waitcnt vmcnt(0) lgkmcnt(0)
	buffer_wbinvl1_vol
	v_cmp_eq_u32_e64 s[20:21], 0, v3
	s_and_b64 s[20:21], s[20:21], exec
	s_or_b64 s[90:91], s[90:91], s[20:21]
	s_and_saveexec_b64 s[92:93], s[90:91]
	s_cbranch_execz .LBB2_359
	s_branch .LBB2_358
.LBB2_364:                              ;   in Loop: Header=BB2_361 Depth=2
	s_add_i32 s94, s94, 1
	s_mov_b64 s[88:89], -1
                                        ; implicit-def: $vgpr3
	s_and_saveexec_b64 s[92:93], s[90:91]
	s_cbranch_execz .LBB2_359
	s_branch .LBB2_358
.LBB2_365:                              ;   in Loop: Header=BB2_49 Depth=1
	s_or_b64 exec, exec, s[60:61]
	s_xor_b64 s[20:21], s[62:63], -1
	s_and_saveexec_b64 s[60:61], s[20:21]
	s_xor_b64 s[20:21], exec, s[60:61]
	s_cbranch_execz .LBB2_367
; %bb.366:                              ;   in Loop: Header=BB2_49 Depth=1
	v_or_b32_e32 v44, 64, v44
	s_waitcnt lgkmcnt(0)
	ds_write_b32 v0, v3
	s_trap 2
.LBB2_367:                              ;   in Loop: Header=BB2_49 Depth=1
	s_or_b64 exec, exec, s[20:21]
.LBB2_368:                              ;   in Loop: Header=BB2_49 Depth=1
	s_or_b64 exec, exec, s[26:27]
	v_and_b32_e32 v3, 0x108, v44
	v_cmp_ne_u32_e32 vcc, s34, v3
	v_and_b32_e32 v3, 7, v8
	;;#ASMSTART
	s_wakeup
	;;#ASMEND
	s_and_saveexec_b64 s[20:21], vcc
	s_xor_b64 s[20:21], exec, s[20:21]
                                        ; implicit-def: $vgpr11
; %bb.369:                              ;   in Loop: Header=BB2_49 Depth=1
	v_mov_b32_e32 v11, v36
; %bb.370:                              ;   in Loop: Header=BB2_49 Depth=1
	s_andn2_saveexec_b64 s[20:21], s[20:21]
	s_cbranch_execz .LBB2_372
; %bb.371:                              ;   in Loop: Header=BB2_49 Depth=1
	v_mad_u64_u32 v[8:9], s[26:27], v3, 24, v[6:7]
	v_ashrrev_i32_e32 v11, 31, v10
	v_lshlrev_b64 v[14:15], 1, v[10:11]
	v_mov_b32_e32 v11, v36
	flat_store_dwordx2 v[8:9], v[14:15] offset:8
.LBB2_372:                              ;   in Loop: Header=BB2_49 Depth=1
	s_or_b64 exec, exec, s[20:21]
	v_and_b32_e32 v8, 0x100, v44
	v_cmp_ne_u32_e32 vcc, 0, v8
	s_mov_b64 s[20:21], -1
                                        ; implicit-def: $vgpr8_vgpr9
	s_and_saveexec_b64 s[26:27], vcc
	s_cbranch_execz .LBB2_376
; %bb.373:                              ;   in Loop: Header=BB2_49 Depth=1
	v_mad_u64_u32 v[14:15], s[20:21], v3, 24, v[6:7]
	v_mov_b32_e32 v8, v15
	v_mad_u64_u32 v[8:9], s[20:21], v11, 24, v[8:9]
	v_mov_b32_e32 v15, v8
	flat_load_dword v8, v[14:15]
	s_waitcnt vmcnt(0) lgkmcnt(0)
	v_cmp_ne_u32_e32 vcc, 1, v8
	v_cmp_eq_u32_e64 s[20:21], 1, v8
                                        ; implicit-def: $vgpr8_vgpr9
	s_and_saveexec_b64 s[60:61], s[20:21]
	s_cbranch_execz .LBB2_375
; %bb.374:                              ;   in Loop: Header=BB2_49 Depth=1
	flat_load_dword v8, v[14:15] offset:4 glc
	s_waitcnt vmcnt(0) lgkmcnt(0)
	v_ashrrev_i32_e32 v9, 31, v8
	v_lshrrev_b64 v[8:9], 1, v[8:9]
.LBB2_375:                              ;   in Loop: Header=BB2_49 Depth=1
	s_or_b64 exec, exec, s[60:61]
	s_orn2_b64 s[20:21], vcc, exec
.LBB2_376:                              ;   in Loop: Header=BB2_49 Depth=1
	s_or_b64 exec, exec, s[26:27]
	s_and_saveexec_b64 s[26:27], s[20:21]
	s_cbranch_execz .LBB2_378
; %bb.377:                              ;   in Loop: Header=BB2_49 Depth=1
	v_mul_lo_u32 v11, v11, v62
	v_mul_lo_u32 v14, v3, v53
	v_mad_u64_u32 v[8:9], s[20:21], v3, v62, 0
	v_add3_u32 v9, v9, v14, v11
.LBB2_378:                              ;   in Loop: Header=BB2_49 Depth=1
	s_or_b64 exec, exec, s[26:27]
	v_cmp_eq_u32_e32 vcc, 0, v2
	v_lshlrev_b64 v[2:3], 1, v[8:9]
	v_cndmask_b32_e32 v11, v40, v41, vcc
	v_add_co_u32_e32 v2, vcc, v24, v2
	v_addc_co_u32_e32 v3, vcc, v25, v3, vcc
	v_add_u32_e32 v8, v0, v11
	ds_write_b64 v8, v[2:3] offset:584
	v_and_b32_e32 v2, 0x2000, v44
	v_cmp_ne_u32_e32 vcc, 0, v2
	s_and_saveexec_b64 s[20:21], vcc
	s_cbranch_execz .LBB2_380
; %bb.379:                              ;   in Loop: Header=BB2_49 Depth=1
	ds_read_b64 v[2:3], v0 offset:872
	s_waitcnt lgkmcnt(0)
	v_add_co_u32_e32 v2, vcc, 1, v2
	v_addc_co_u32_e32 v3, vcc, 0, v3, vcc
	ds_write_b64 v0, v[2:3] offset:872
.LBB2_380:                              ;   in Loop: Header=BB2_49 Depth=1
	s_or_b64 exec, exec, s[20:21]
	v_mov_b32_e32 v8, v12
	v_mov_b32_e32 v9, v13
.LBB2_381:                              ;   in Loop: Header=BB2_49 Depth=1
	s_or_b64 exec, exec, s[24:25]
	s_and_saveexec_b64 s[20:21], s[10:11]
	s_cbranch_execz .LBB2_400
; %bb.382:                              ;   in Loop: Header=BB2_49 Depth=1
	s_and_saveexec_b64 s[24:25], s[46:47]
	s_xor_b64 s[24:25], exec, s[24:25]
	s_cbranch_execz .LBB2_397
; %bb.383:                              ;   in Loop: Header=BB2_49 Depth=1
	s_and_saveexec_b64 s[26:27], s[12:13]
	s_cbranch_execz .LBB2_396
; %bb.384:                              ;   in Loop: Header=BB2_49 Depth=1
	s_mov_b64 s[62:63], exec
	v_mbcnt_lo_u32_b32 v2, s62, 0
	v_mbcnt_hi_u32_b32 v2, s63, v2
	v_cmp_eq_u32_e32 vcc, 0, v2
	s_waitcnt vmcnt(0) lgkmcnt(0)
	buffer_wbinvl1_vol
	s_and_saveexec_b64 s[60:61], vcc
	s_cbranch_execz .LBB2_386
; %bb.385:                              ;   in Loop: Header=BB2_49 Depth=1
	s_bcnt1_i32_b64 s62, s[62:63]
	v_mov_b32_e32 v2, s62
	v_mov_b32_e32 v3, v36
	ds_add_u64 v0, v[2:3]
	s_trap 2
.LBB2_386:                              ;   in Loop: Header=BB2_49 Depth=1
	s_or_b64 exec, exec, s[60:61]
	s_trap 2
	ds_read_b64 v[2:3], v0
	s_waitcnt lgkmcnt(0)
	v_add_co_u32_e32 v26, vcc, v26, v46
	v_addc_co_u32_e32 v27, vcc, 0, v27, vcc
	v_cmp_lt_u64_e32 vcc, v[2:3], v[26:27]
	s_and_saveexec_b64 s[60:61], vcc
	s_cbranch_execz .LBB2_395
; %bb.387:                              ;   in Loop: Header=BB2_49 Depth=1
	s_mov_b32 s90, 0
	s_mov_b64 s[62:63], 0
                                        ; implicit-def: $sgpr72_sgpr73
                                        ; implicit-def: $sgpr74_sgpr75
	s_branch .LBB2_389
.LBB2_388:                              ;   in Loop: Header=BB2_389 Depth=2
	s_or_b64 exec, exec, s[78:79]
	s_and_b64 s[76:77], exec, s[88:89]
	s_or_b64 s[62:63], s[76:77], s[62:63]
	s_andn2_b64 s[72:73], s[72:73], exec
	s_and_b64 s[76:77], s[74:75], exec
	s_or_b64 s[72:73], s[72:73], s[76:77]
	s_andn2_b64 exec, exec, s[62:63]
	s_cbranch_execz .LBB2_393
.LBB2_389:                              ;   Parent Loop BB2_49 Depth=1
                                        ; =>  This Inner Loop Header: Depth=2
	s_add_i32 s90, s90, 1
	s_cmpk_lg_i32 s90, 0x2710
	s_cselect_b64 s[76:77], -1, 0
	s_and_b64 vcc, exec, s[76:77]
	s_cbranch_vccz .LBB2_391
; %bb.390:                              ;   in Loop: Header=BB2_389 Depth=2
	s_mov_b64 s[88:89], -1
	s_or_b64 s[74:75], s[74:75], exec
	s_and_saveexec_b64 s[78:79], s[76:77]
	s_cbranch_execz .LBB2_388
	s_branch .LBB2_392
.LBB2_391:                              ;   in Loop: Header=BB2_389 Depth=2
	s_trap 2
	ds_read_b64 v[2:3], v0
	s_andn2_b64 s[76:77], s[76:77], exec
	s_mov_b32 s90, 0
	s_waitcnt lgkmcnt(0)
	flat_load_dword v2, v[2:3] glc
	s_waitcnt vmcnt(0) lgkmcnt(0)
	buffer_wbinvl1_vol
	v_cmp_eq_u32_e32 vcc, 0, v2
	s_and_b64 s[78:79], vcc, exec
	s_or_b64 s[76:77], s[76:77], s[78:79]
	s_mov_b64 s[88:89], -1
	s_or_b64 s[74:75], s[74:75], exec
	s_and_saveexec_b64 s[78:79], s[76:77]
	s_cbranch_execz .LBB2_388
.LBB2_392:                              ;   in Loop: Header=BB2_389 Depth=2
	s_sleep 1
	s_trap 2
	ds_read_b64 v[2:3], v0
	s_waitcnt lgkmcnt(0)
	s_andn2_b64 s[74:75], s[74:75], exec
	v_cmp_ge_u64_e32 vcc, v[2:3], v[26:27]
	s_orn2_b64 s[88:89], vcc, exec
	s_branch .LBB2_388
.LBB2_393:                              ;   in Loop: Header=BB2_49 Depth=1
	s_or_b64 exec, exec, s[62:63]
	s_and_saveexec_b64 s[62:63], s[72:73]
	s_xor_b64 s[62:63], exec, s[62:63]
	s_cbranch_execz .LBB2_395
; %bb.394:                              ;   in Loop: Header=BB2_49 Depth=1
	ds_write_b32 v0, v54
	s_trap 2
.LBB2_395:                              ;   in Loop: Header=BB2_49 Depth=1
	s_or_b64 exec, exec, s[60:61]
	;;#ASMSTART
	s_wakeup
	;;#ASMEND
.LBB2_396:                              ;   in Loop: Header=BB2_49 Depth=1
	s_or_b64 exec, exec, s[26:27]
.LBB2_397:                              ;   in Loop: Header=BB2_49 Depth=1
	s_andn2_saveexec_b64 s[24:25], s[24:25]
	s_cbranch_execz .LBB2_399
; %bb.398:                              ;   in Loop: Header=BB2_49 Depth=1
	s_waitcnt vmcnt(0) lgkmcnt(0)
	buffer_wbinvl1_vol
	s_barrier
.LBB2_399:                              ;   in Loop: Header=BB2_49 Depth=1
	s_or_b64 exec, exec, s[24:25]
.LBB2_400:                              ;   in Loop: Header=BB2_49 Depth=1
	s_or_b64 exec, exec, s[20:21]
	s_trap 2
	ds_read_b32 v3, v0
	v_cmp_lt_i32_e32 vcc, 0, v10
	v_and_b32_e32 v2, 16, v44
	s_waitcnt lgkmcnt(0)
	v_readfirstlane_b32 s20, v3
	s_cmp_eq_u32 s20, 0
	s_cselect_b64 s[20:21], -1, 0
	s_and_b64 s[20:21], vcc, s[20:21]
	v_cmp_ne_u32_e32 vcc, 0, v2
	s_and_b64 s[24:25], vcc, s[20:21]
	s_and_saveexec_b64 s[20:21], s[24:25]
	s_cbranch_execz .LBB2_402
; %bb.401:                              ;   in Loop: Header=BB2_49 Depth=1
	s_waitcnt vmcnt(0)
	buffer_wbinvl1_vol
.LBB2_402:                              ;   in Loop: Header=BB2_49 Depth=1
	s_or_b64 exec, exec, s[20:21]
	v_cmp_ne_u32_e32 vcc, 0, v2
	s_xor_b64 s[20:21], s[18:19], -1
	s_and_b64 s[24:25], vcc, s[20:21]
	s_and_saveexec_b64 s[20:21], s[24:25]
	s_cbranch_execz .LBB2_404
; %bb.403:                              ;   in Loop: Header=BB2_49 Depth=1
	buffer_load_dword v2, off, s[0:3], s33 offset:60 ; 4-byte Folded Reload
	buffer_load_dword v3, off, s[0:3], s33 offset:64 ; 4-byte Folded Reload
	s_waitcnt vmcnt(0)
	flat_store_dword v[2:3], v54
.LBB2_404:                              ;   in Loop: Header=BB2_49 Depth=1
	s_or_b64 exec, exec, s[20:21]
	v_and_b32_e32 v2, 48, v44
	v_cmp_ne_u32_e32 vcc, 0, v2
	s_and_saveexec_b64 s[20:21], vcc
	s_cbranch_execz .LBB2_47
; %bb.405:                              ;   in Loop: Header=BB2_49 Depth=1
	v_add_co_u32_e32 v8, vcc, 1, v8
	v_addc_co_u32_e32 v9, vcc, 0, v9, vcc
	flat_store_dwordx2 v[22:23], v[8:9]
	s_branch .LBB2_47
.LBB2_406:
	s_or_b64 exec, exec, s[56:57]
	buffer_load_dword v31, off, s[0:3], s33 offset:88 ; 4-byte Folded Reload
	buffer_load_dword v59, off, s[0:3], s33 offset:68 ; 4-byte Folded Reload
	;; [unrolled: 1-line block ×4, first 2 shown]
.LBB2_407:
	s_or_b64 exec, exec, s[44:45]
                                        ; implicit-def: $vgpr0_vgpr1
                                        ; implicit-def: $vgpr4_vgpr5
                                        ; implicit-def: $vgpr62
                                        ; implicit-def: $vgpr28_vgpr29
                                        ; implicit-def: $vgpr24_vgpr25
                                        ; implicit-def: $vgpr22_vgpr23
                                        ; implicit-def: $vgpr35
                                        ; implicit-def: $vgpr30
                                        ; implicit-def: $vgpr32
.LBB2_408:
	s_andn2_saveexec_b64 s[26:27], s[42:43]
	s_cbranch_execz .LBB2_760
; %bb.409:
	v_mov_b32_e32 v26, 0
	v_cmp_ne_u64_e32 vcc, 0, v[4:5]
	v_mov_b32_e32 v27, 0
	s_and_saveexec_b64 s[42:43], vcc
	s_cbranch_execz .LBB2_759
; %bb.410:
	s_waitcnt vmcnt(0)
	v_and_b32_e32 v2, 63, v31
	s_lshr_b32 s6, s30, 27
	v_cmp_eq_u32_e64 s[12:13], 0, v2
	v_and_b32_e32 v2, 63, v35
	s_add_i32 s6, s30, s6
	v_cmp_eq_u32_e32 vcc, 64, v45
	v_lshrrev_b32_e32 v41, 6, v45
	v_cmp_le_u32_e64 s[14:15], v2, v30
	v_cmp_eq_u32_e64 s[16:17], 0, v2
	v_lshlrev_b32_e32 v2, 1, v45
	v_mov_b32_e32 v36, 0
	v_mov_b32_e32 v26, 0
	s_ashr_i32 s94, s6, 5
	v_cmp_ge_u32_e64 s[6:7], v35, v45
	v_cmp_ne_u32_e64 s[10:11], 64, v45
	v_cmp_ne_u32_sdwa s[44:45], v45, v59 src0_sel:DWORD src1_sel:WORD_0
	v_mov_b32_e32 v18, 0
	v_lshlrev_b32_e32 v43, 4, v35
	v_lshlrev_b32_e32 v46, 10, v41
	;; [unrolled: 1-line block ×3, first 2 shown]
	v_and_b32_e32 v56, 0x7f80, v2
	s_mov_b64 s[46:47], 0
	v_mov_b32_e32 v37, 0
	v_mov_b32_e32 v27, 0
	s_xor_b64 s[56:57], vcc, -1
	s_movk_i32 s95, 0x7c01
	s_movk_i32 s31, 0x7c00
	v_mov_b32_e32 v58, 0x7fff
	v_mov_b32_e32 v21, v62
	buffer_store_dword v60, off, s[0:3], s33 offset:80 ; 4-byte Folded Spill
	s_nop 0
	buffer_store_dword v61, off, s[0:3], s33 offset:84 ; 4-byte Folded Spill
	s_trap 2
	buffer_store_dword v59, off, s[0:3], s33 offset:68 ; 4-byte Folded Spill
	buffer_store_dword v31, off, s[0:3], s33 offset:88 ; 4-byte Folded Spill
	s_branch .LBB2_413
.LBB2_411:                              ;   in Loop: Header=BB2_413 Depth=1
	s_or_b64 exec, exec, s[18:19]
.LBB2_412:                              ;   in Loop: Header=BB2_413 Depth=1
	s_or_b64 exec, exec, s[20:21]
	v_add_co_u32_e32 v36, vcc, v36, v32
	v_addc_co_u32_e32 v37, vcc, 0, v37, vcc
	v_cmp_ge_u64_e32 vcc, v[36:37], v[4:5]
	s_or_b64 s[46:47], vcc, s[46:47]
	s_andn2_b64 exec, exec, s[46:47]
	s_cbranch_execz .LBB2_758
.LBB2_413:                              ; =>This Loop Header: Depth=1
                                        ;     Child Loop BB2_422 Depth 2
                                        ;     Child Loop BB2_446 Depth 2
	;; [unrolled: 1-line block ×10, first 2 shown]
	v_sub_co_u32_e32 v2, vcc, v4, v36
	v_subb_co_u32_e32 v3, vcc, v5, v37, vcc
	v_cmp_lt_u64_e32 vcc, v[32:33], v[2:3]
	v_cndmask_b32_e64 v39, v3, 0, vcc
	v_cndmask_b32_e32 v38, v2, v32, vcc
	v_cmp_eq_u64_e32 vcc, 0, v[38:39]
	v_add_u32_e32 v2, 15, v38
	v_and_b32_e32 v2, 0x3ffffff0, v2
	s_or_b64 s[58:59], s[6:7], vcc
	v_max_i32_e32 v59, s94, v2
	s_xor_b64 s[18:19], s[58:59], -1
	v_mov_b32_e32 v2, 0
	s_and_saveexec_b64 s[60:61], s[18:19]
	s_cbranch_execz .LBB2_712
; %bb.414:                              ;   in Loop: Header=BB2_413 Depth=1
	s_and_saveexec_b64 s[18:19], s[4:5]
	s_cbranch_execz .LBB2_416
; %bb.415:                              ;   in Loop: Header=BB2_413 Depth=1
	s_trap 2
	ds_read2_b64 v[10:13], v0 offset1:1
	ds_read_b64 v[14:15], v0
	v_add_co_u32_e32 v2, vcc, v36, v0
	v_addc_co_u32_e32 v3, vcc, v37, v1, vcc
	v_lshlrev_b64 v[2:3], 1, v[2:3]
	s_waitcnt lgkmcnt(0)
	v_add_co_u32_e32 v10, vcc, v10, v2
	v_addc_co_u32_e32 v11, vcc, v11, v3, vcc
	ds_write_b64 v0, v[10:11]
	v_add_co_u32_e32 v10, vcc, v12, v2
	v_addc_co_u32_e32 v11, vcc, v13, v3, vcc
	v_add_co_u32_e32 v2, vcc, v14, v2
	v_addc_co_u32_e32 v3, vcc, v15, v3, vcc
	v_cmp_ne_u64_e32 vcc, 0, v[14:15]
	ds_write_b64 v0, v[10:11]
	v_cndmask_b32_e32 v3, 0, v3, vcc
	v_cndmask_b32_e32 v2, 0, v2, vcc
	ds_write_b64 v0, v[2:3]
.LBB2_416:                              ;   in Loop: Header=BB2_413 Depth=1
	s_or_b64 exec, exec, s[18:19]
	v_and_b32_e32 v2, 4, v44
	v_cmp_ne_u32_e32 vcc, 0, v2
	s_and_saveexec_b64 s[20:21], vcc
	s_cbranch_execz .LBB2_438
; %bb.417:                              ;   in Loop: Header=BB2_413 Depth=1
	s_waitcnt lgkmcnt(0)
	v_add_co_u32_e32 v10, vcc, 1, v8
	v_addc_co_u32_e32 v11, vcc, 0, v9, vcc
	s_waitcnt vmcnt(0)
	v_cmp_lt_u64_e32 vcc, v[28:29], v[10:11]
	s_and_saveexec_b64 s[22:23], vcc
	s_cbranch_execz .LBB2_429
; %bb.418:                              ;   in Loop: Header=BB2_413 Depth=1
	v_and_b32_e32 v2, 64, v44
	s_mov_b32 s34, 0
	v_cmp_eq_u32_e32 vcc, 0, v2
	s_mov_b64 s[24:25], 0
                                        ; implicit-def: $sgpr62_sgpr63
                                        ; implicit-def: $sgpr72_sgpr73
                                        ; implicit-def: $sgpr74_sgpr75
	s_branch .LBB2_422
.LBB2_419:                              ;   in Loop: Header=BB2_422 Depth=2
	s_waitcnt vmcnt(0) lgkmcnt(0)
	v_cmp_ge_u64_e64 s[18:19], v[28:29], v[10:11]
	s_or_b64 s[88:89], s[88:89], exec
	s_orn2_b64 s[78:79], s[18:19], exec
.LBB2_420:                              ;   in Loop: Header=BB2_422 Depth=2
	s_or_b64 exec, exec, s[92:93]
	s_andn2_b64 s[18:19], s[74:75], exec
	s_and_b64 s[74:75], s[88:89], exec
	s_or_b64 s[74:75], s[18:19], s[74:75]
	s_andn2_b64 s[18:19], s[72:73], exec
	s_and_b64 s[72:73], s[78:79], exec
	s_or_b64 s[72:73], s[18:19], s[72:73]
.LBB2_421:                              ;   in Loop: Header=BB2_422 Depth=2
	s_or_b64 exec, exec, s[76:77]
	s_and_b64 s[18:19], exec, s[72:73]
	s_or_b64 s[24:25], s[18:19], s[24:25]
	s_andn2_b64 s[18:19], s[62:63], exec
	s_and_b64 s[62:63], s[74:75], exec
	s_or_b64 s[62:63], s[18:19], s[62:63]
	s_andn2_b64 exec, exec, s[24:25]
	s_cbranch_execz .LBB2_426
.LBB2_422:                              ;   Parent Loop BB2_413 Depth=1
                                        ; =>  This Inner Loop Header: Depth=2
	s_sleep 1
	s_waitcnt vmcnt(0) lgkmcnt(0)
	flat_load_dwordx2 v[28:29], v[22:23] glc
	s_or_b64 s[74:75], s[74:75], exec
	s_or_b64 s[72:73], s[72:73], exec
                                        ; implicit-def: $vgpr2
	s_and_saveexec_b64 s[76:77], vcc
	s_cbranch_execz .LBB2_421
; %bb.423:                              ;   in Loop: Header=BB2_422 Depth=2
	s_cmpk_lt_i32 s34, 0x270f
	s_cselect_b64 s[90:91], -1, 0
	s_cmpk_gt_i32 s34, 0x270e
	s_mov_b64 s[78:79], -1
	s_cbranch_scc0 .LBB2_425
; %bb.424:                              ;   in Loop: Header=BB2_422 Depth=2
	s_trap 2
	ds_read_b64 v[2:3], v0
	s_andn2_b64 s[90:91], s[90:91], exec
	s_mov_b32 s34, 0
	s_mov_b64 s[88:89], 0
	s_waitcnt vmcnt(0) lgkmcnt(0)
	flat_load_dword v2, v[2:3] glc
	s_waitcnt vmcnt(0) lgkmcnt(0)
	buffer_wbinvl1_vol
	v_cmp_eq_u32_e64 s[18:19], 0, v2
	s_and_b64 s[18:19], s[18:19], exec
	s_or_b64 s[90:91], s[90:91], s[18:19]
	s_and_saveexec_b64 s[92:93], s[90:91]
	s_cbranch_execz .LBB2_420
	s_branch .LBB2_419
.LBB2_425:                              ;   in Loop: Header=BB2_422 Depth=2
	s_add_i32 s34, s34, 1
	s_mov_b64 s[88:89], -1
                                        ; implicit-def: $vgpr2
	s_and_saveexec_b64 s[92:93], s[90:91]
	s_cbranch_execz .LBB2_420
	s_branch .LBB2_419
.LBB2_426:                              ;   in Loop: Header=BB2_413 Depth=1
	s_or_b64 exec, exec, s[24:25]
	s_xor_b64 s[18:19], s[62:63], -1
	s_and_saveexec_b64 s[24:25], s[18:19]
	s_xor_b64 s[18:19], exec, s[24:25]
	s_cbranch_execz .LBB2_428
; %bb.427:                              ;   in Loop: Header=BB2_413 Depth=1
	v_or_b32_e32 v44, 64, v44
	s_waitcnt lgkmcnt(0)
	ds_write_b32 v0, v2
	s_trap 2
.LBB2_428:                              ;   in Loop: Header=BB2_413 Depth=1
	s_or_b64 exec, exec, s[18:19]
.LBB2_429:                              ;   in Loop: Header=BB2_413 Depth=1
	s_or_b64 exec, exec, s[22:23]
	v_and_b32_e32 v2, 0x100, v44
	v_cmp_ne_u32_e32 vcc, 0, v2
	v_and_b32_e32 v2, 7, v8
	s_mov_b64 s[18:19], -1
	;;#ASMSTART
	s_wakeup
	;;#ASMEND
                                        ; implicit-def: $vgpr8_vgpr9
	s_and_saveexec_b64 s[22:23], vcc
	s_cbranch_execz .LBB2_433
; %bb.430:                              ;   in Loop: Header=BB2_413 Depth=1
	v_mad_u64_u32 v[12:13], s[18:19], v2, 24, v[6:7]
                                        ; implicit-def: $vgpr8_vgpr9
	flat_load_dword v3, v[12:13]
	s_waitcnt vmcnt(0) lgkmcnt(0)
	v_cmp_ne_u32_e32 vcc, 1, v3
	v_cmp_eq_u32_e64 s[18:19], 1, v3
	s_and_saveexec_b64 s[24:25], s[18:19]
	s_cbranch_execz .LBB2_432
; %bb.431:                              ;   in Loop: Header=BB2_413 Depth=1
	flat_load_dword v8, v[12:13] offset:4 glc
	s_waitcnt vmcnt(0) lgkmcnt(0)
	v_ashrrev_i32_e32 v9, 31, v8
	v_lshrrev_b64 v[8:9], 1, v[8:9]
.LBB2_432:                              ;   in Loop: Header=BB2_413 Depth=1
	s_or_b64 exec, exec, s[24:25]
	s_orn2_b64 s[18:19], vcc, exec
.LBB2_433:                              ;   in Loop: Header=BB2_413 Depth=1
	s_or_b64 exec, exec, s[22:23]
	s_and_saveexec_b64 s[22:23], s[18:19]
; %bb.434:                              ;   in Loop: Header=BB2_413 Depth=1
	v_mad_i64_i32 v[8:9], s[18:19], v2, v62, 0
; %bb.435:                              ;   in Loop: Header=BB2_413 Depth=1
	s_or_b64 exec, exec, s[22:23]
	v_lshlrev_b64 v[2:3], 1, v[8:9]
	v_add_co_u32_e32 v2, vcc, v24, v2
	v_addc_co_u32_e32 v3, vcc, v25, v3, vcc
	ds_write_b64 v0, v[2:3] offset:728
	v_and_b32_e32 v2, 0x2000, v44
	v_cmp_ne_u32_e32 vcc, 0, v2
	s_and_saveexec_b64 s[18:19], vcc
	s_cbranch_execz .LBB2_437
; %bb.436:                              ;   in Loop: Header=BB2_413 Depth=1
	ds_read_b64 v[2:3], v0 offset:872
	s_waitcnt lgkmcnt(0)
	v_add_co_u32_e32 v2, vcc, 1, v2
	v_addc_co_u32_e32 v3, vcc, 0, v3, vcc
	ds_write_b64 v0, v[2:3] offset:872
.LBB2_437:                              ;   in Loop: Header=BB2_413 Depth=1
	s_or_b64 exec, exec, s[18:19]
	v_mov_b32_e32 v8, v10
	v_mov_b32_e32 v9, v11
.LBB2_438:                              ;   in Loop: Header=BB2_413 Depth=1
	s_or_b64 exec, exec, s[20:21]
	s_and_saveexec_b64 s[18:19], s[10:11]
	s_cbranch_execz .LBB2_457
; %bb.439:                              ;   in Loop: Header=BB2_413 Depth=1
	s_and_saveexec_b64 s[20:21], s[44:45]
	s_xor_b64 s[20:21], exec, s[20:21]
	s_cbranch_execz .LBB2_454
; %bb.440:                              ;   in Loop: Header=BB2_413 Depth=1
	s_and_saveexec_b64 s[22:23], s[12:13]
	s_cbranch_execz .LBB2_453
; %bb.441:                              ;   in Loop: Header=BB2_413 Depth=1
	s_mov_b64 s[62:63], exec
	v_mbcnt_lo_u32_b32 v2, s62, 0
	v_mbcnt_hi_u32_b32 v2, s63, v2
	v_cmp_eq_u32_e32 vcc, 0, v2
	s_waitcnt vmcnt(0) lgkmcnt(0)
	buffer_wbinvl1_vol
	s_and_saveexec_b64 s[24:25], vcc
	s_cbranch_execz .LBB2_443
; %bb.442:                              ;   in Loop: Header=BB2_413 Depth=1
	s_bcnt1_i32_b64 s62, s[62:63]
	v_mov_b32_e32 v17, s62
	ds_add_u64 v0, v[17:18]
	s_trap 2
.LBB2_443:                              ;   in Loop: Header=BB2_413 Depth=1
	s_or_b64 exec, exec, s[24:25]
	s_trap 2
	ds_read_b64 v[2:3], v0
	s_waitcnt lgkmcnt(0)
	v_add_co_u32_e32 v26, vcc, v26, v41
	v_addc_co_u32_e32 v27, vcc, 0, v27, vcc
	v_cmp_lt_u64_e32 vcc, v[2:3], v[26:27]
	s_and_saveexec_b64 s[24:25], vcc
	s_cbranch_execz .LBB2_452
; %bb.444:                              ;   in Loop: Header=BB2_413 Depth=1
	s_mov_b32 s90, 0
	s_mov_b64 s[62:63], 0
                                        ; implicit-def: $sgpr72_sgpr73
                                        ; implicit-def: $sgpr74_sgpr75
	s_branch .LBB2_446
.LBB2_445:                              ;   in Loop: Header=BB2_446 Depth=2
	s_or_b64 exec, exec, s[78:79]
	s_and_b64 s[76:77], exec, s[88:89]
	s_or_b64 s[62:63], s[76:77], s[62:63]
	s_andn2_b64 s[72:73], s[72:73], exec
	s_and_b64 s[76:77], s[74:75], exec
	s_or_b64 s[72:73], s[72:73], s[76:77]
	s_andn2_b64 exec, exec, s[62:63]
	s_cbranch_execz .LBB2_450
.LBB2_446:                              ;   Parent Loop BB2_413 Depth=1
                                        ; =>  This Inner Loop Header: Depth=2
	s_add_i32 s90, s90, 1
	s_cmpk_lg_i32 s90, 0x2710
	s_cselect_b64 s[76:77], -1, 0
	s_and_b64 vcc, exec, s[76:77]
	s_cbranch_vccz .LBB2_448
; %bb.447:                              ;   in Loop: Header=BB2_446 Depth=2
	s_mov_b64 s[88:89], -1
	s_or_b64 s[74:75], s[74:75], exec
	s_and_saveexec_b64 s[78:79], s[76:77]
	s_cbranch_execz .LBB2_445
	s_branch .LBB2_449
.LBB2_448:                              ;   in Loop: Header=BB2_446 Depth=2
	s_trap 2
	ds_read_b64 v[2:3], v0
	s_andn2_b64 s[76:77], s[76:77], exec
	s_mov_b32 s90, 0
	s_waitcnt lgkmcnt(0)
	flat_load_dword v2, v[2:3] glc
	s_waitcnt vmcnt(0) lgkmcnt(0)
	buffer_wbinvl1_vol
	v_cmp_eq_u32_e32 vcc, 0, v2
	s_and_b64 s[78:79], vcc, exec
	s_or_b64 s[76:77], s[76:77], s[78:79]
	s_mov_b64 s[88:89], -1
	s_or_b64 s[74:75], s[74:75], exec
	s_and_saveexec_b64 s[78:79], s[76:77]
	s_cbranch_execz .LBB2_445
.LBB2_449:                              ;   in Loop: Header=BB2_446 Depth=2
	s_sleep 1
	s_trap 2
	ds_read_b64 v[2:3], v0
	s_waitcnt lgkmcnt(0)
	s_andn2_b64 s[74:75], s[74:75], exec
	v_cmp_ge_u64_e32 vcc, v[2:3], v[26:27]
	s_orn2_b64 s[88:89], vcc, exec
	s_branch .LBB2_445
.LBB2_450:                              ;   in Loop: Header=BB2_413 Depth=1
	s_or_b64 exec, exec, s[62:63]
	s_and_saveexec_b64 s[62:63], s[72:73]
	s_xor_b64 s[62:63], exec, s[62:63]
	s_cbranch_execz .LBB2_452
; %bb.451:                              ;   in Loop: Header=BB2_413 Depth=1
	v_mov_b32_e32 v2, 1
	ds_write_b32 v0, v2
	s_trap 2
.LBB2_452:                              ;   in Loop: Header=BB2_413 Depth=1
	s_or_b64 exec, exec, s[24:25]
	;;#ASMSTART
	s_wakeup
	;;#ASMEND
.LBB2_453:                              ;   in Loop: Header=BB2_413 Depth=1
	s_or_b64 exec, exec, s[22:23]
.LBB2_454:                              ;   in Loop: Header=BB2_413 Depth=1
	s_andn2_saveexec_b64 s[20:21], s[20:21]
	s_cbranch_execz .LBB2_456
; %bb.455:                              ;   in Loop: Header=BB2_413 Depth=1
	s_waitcnt vmcnt(0) lgkmcnt(0)
	buffer_wbinvl1_vol
	s_barrier
.LBB2_456:                              ;   in Loop: Header=BB2_413 Depth=1
	s_or_b64 exec, exec, s[20:21]
.LBB2_457:                              ;   in Loop: Header=BB2_413 Depth=1
	s_or_b64 exec, exec, s[18:19]
	s_trap 2
	ds_read_b32 v2, v0
	v_and_b32_e32 v3, 0x4000, v44
	v_cmp_ne_u32_e32 vcc, 0, v3
	s_and_b64 s[20:21], s[56:57], vcc
	s_and_saveexec_b64 s[18:19], s[20:21]
	s_cbranch_execz .LBB2_476
; %bb.458:                              ;   in Loop: Header=BB2_413 Depth=1
	s_and_saveexec_b64 s[20:21], s[44:45]
	s_xor_b64 s[20:21], exec, s[20:21]
	s_cbranch_execz .LBB2_473
; %bb.459:                              ;   in Loop: Header=BB2_413 Depth=1
	s_and_saveexec_b64 s[22:23], s[12:13]
	s_cbranch_execz .LBB2_472
; %bb.460:                              ;   in Loop: Header=BB2_413 Depth=1
	s_mov_b64 s[62:63], exec
	v_mbcnt_lo_u32_b32 v3, s62, 0
	v_mbcnt_hi_u32_b32 v3, s63, v3
	v_cmp_eq_u32_e32 vcc, 0, v3
	s_waitcnt vmcnt(0) lgkmcnt(0)
	buffer_wbinvl1_vol
	s_and_saveexec_b64 s[24:25], vcc
	s_cbranch_execz .LBB2_462
; %bb.461:                              ;   in Loop: Header=BB2_413 Depth=1
	s_bcnt1_i32_b64 s62, s[62:63]
	v_mov_b32_e32 v17, s62
	ds_add_u64 v0, v[17:18]
	s_trap 2
.LBB2_462:                              ;   in Loop: Header=BB2_413 Depth=1
	s_or_b64 exec, exec, s[24:25]
	s_trap 2
	ds_read_b64 v[10:11], v0
	s_waitcnt lgkmcnt(0)
	v_add_co_u32_e32 v26, vcc, v26, v41
	v_addc_co_u32_e32 v27, vcc, 0, v27, vcc
	v_cmp_lt_u64_e32 vcc, v[10:11], v[26:27]
	s_and_saveexec_b64 s[24:25], vcc
	s_cbranch_execz .LBB2_471
; %bb.463:                              ;   in Loop: Header=BB2_413 Depth=1
	s_mov_b32 s90, 0
	s_mov_b64 s[62:63], 0
                                        ; implicit-def: $sgpr72_sgpr73
                                        ; implicit-def: $sgpr74_sgpr75
	s_branch .LBB2_465
.LBB2_464:                              ;   in Loop: Header=BB2_465 Depth=2
	s_or_b64 exec, exec, s[78:79]
	s_and_b64 s[76:77], exec, s[88:89]
	s_or_b64 s[62:63], s[76:77], s[62:63]
	s_andn2_b64 s[72:73], s[72:73], exec
	s_and_b64 s[76:77], s[74:75], exec
	s_or_b64 s[72:73], s[72:73], s[76:77]
	s_andn2_b64 exec, exec, s[62:63]
	s_cbranch_execz .LBB2_469
.LBB2_465:                              ;   Parent Loop BB2_413 Depth=1
                                        ; =>  This Inner Loop Header: Depth=2
	s_add_i32 s90, s90, 1
	s_cmpk_lg_i32 s90, 0x2710
	s_cselect_b64 s[76:77], -1, 0
	s_and_b64 vcc, exec, s[76:77]
	s_cbranch_vccz .LBB2_467
; %bb.466:                              ;   in Loop: Header=BB2_465 Depth=2
	s_mov_b64 s[88:89], -1
	s_or_b64 s[74:75], s[74:75], exec
	s_and_saveexec_b64 s[78:79], s[76:77]
	s_cbranch_execz .LBB2_464
	s_branch .LBB2_468
.LBB2_467:                              ;   in Loop: Header=BB2_465 Depth=2
	s_trap 2
	ds_read_b64 v[10:11], v0
	s_andn2_b64 s[76:77], s[76:77], exec
	s_mov_b32 s90, 0
	s_waitcnt lgkmcnt(0)
	flat_load_dword v3, v[10:11] glc
	s_waitcnt vmcnt(0) lgkmcnt(0)
	buffer_wbinvl1_vol
	v_cmp_eq_u32_e32 vcc, 0, v3
	s_and_b64 s[78:79], vcc, exec
	s_or_b64 s[76:77], s[76:77], s[78:79]
	s_mov_b64 s[88:89], -1
	s_or_b64 s[74:75], s[74:75], exec
	s_and_saveexec_b64 s[78:79], s[76:77]
	s_cbranch_execz .LBB2_464
.LBB2_468:                              ;   in Loop: Header=BB2_465 Depth=2
	s_sleep 1
	s_trap 2
	ds_read_b64 v[10:11], v0
	s_waitcnt lgkmcnt(0)
	s_andn2_b64 s[74:75], s[74:75], exec
	v_cmp_ge_u64_e32 vcc, v[10:11], v[26:27]
	s_orn2_b64 s[88:89], vcc, exec
	s_branch .LBB2_464
.LBB2_469:                              ;   in Loop: Header=BB2_413 Depth=1
	s_or_b64 exec, exec, s[62:63]
	s_and_saveexec_b64 s[62:63], s[72:73]
	s_xor_b64 s[62:63], exec, s[62:63]
	s_cbranch_execz .LBB2_471
; %bb.470:                              ;   in Loop: Header=BB2_413 Depth=1
	v_mov_b32_e32 v3, 1
	ds_write_b32 v0, v3
	s_trap 2
.LBB2_471:                              ;   in Loop: Header=BB2_413 Depth=1
	s_or_b64 exec, exec, s[24:25]
	;;#ASMSTART
	s_wakeup
	;;#ASMEND
.LBB2_472:                              ;   in Loop: Header=BB2_413 Depth=1
	s_or_b64 exec, exec, s[22:23]
.LBB2_473:                              ;   in Loop: Header=BB2_413 Depth=1
	s_andn2_saveexec_b64 s[20:21], s[20:21]
	s_cbranch_execz .LBB2_475
; %bb.474:                              ;   in Loop: Header=BB2_413 Depth=1
	s_waitcnt vmcnt(0) lgkmcnt(0)
	buffer_wbinvl1_vol
	s_barrier
.LBB2_475:                              ;   in Loop: Header=BB2_413 Depth=1
	s_or_b64 exec, exec, s[20:21]
.LBB2_476:                              ;   in Loop: Header=BB2_413 Depth=1
	s_or_b64 exec, exec, s[18:19]
	s_trap 2
	ds_read_b64 v[48:49], v0
	v_min_u32_e32 v59, v59, v38
	s_waitcnt lgkmcnt(0)
	v_cmp_eq_u64_e32 vcc, 0, v[48:49]
	s_cbranch_vccnz .LBB2_484
; %bb.477:                              ;   in Loop: Header=BB2_413 Depth=1
	s_trap 2
	ds_read_b64 v[50:51], v0
	s_waitcnt lgkmcnt(0)
	v_cmp_eq_u64_e32 vcc, 0, v[50:51]
	s_cbranch_vccnz .LBB2_484
; %bb.478:                              ;   in Loop: Header=BB2_413 Depth=1
	s_trap 2
	ds_read_b64 v[10:11], v0
	s_mov_b64 s[18:19], -1
	s_waitcnt lgkmcnt(0)
	v_readfirstlane_b32 s92, v10
	s_and_saveexec_b64 s[20:21], s[14:15]
	s_cbranch_execz .LBB2_480
; %bb.479:                              ;   in Loop: Header=BB2_413 Depth=1
	ds_read_b32 v3, v0 offset:720
	s_waitcnt lgkmcnt(0)
	v_and_b32_e32 v3, 15, v3
	v_cmp_eq_u32_e32 vcc, 0, v3
	s_orn2_b64 s[18:19], vcc, exec
.LBB2_480:                              ;   in Loop: Header=BB2_413 Depth=1
	s_or_b64 exec, exec, s[20:21]
	s_and_saveexec_b64 s[20:21], s[16:17]
	s_cbranch_execz .LBB2_482
; %bb.481:                              ;   in Loop: Header=BB2_413 Depth=1
	ds_read_b32 v3, v0 offset:784
	s_waitcnt lgkmcnt(0)
	v_and_b32_e32 v3, 15, v3
	v_cmp_eq_u32_e32 vcc, 0, v3
	s_and_b64 s[22:23], s[18:19], vcc
	s_andn2_b64 s[18:19], s[18:19], exec
	s_and_b64 s[22:23], s[22:23], exec
	s_or_b64 s[18:19], s[18:19], s[22:23]
.LBB2_482:                              ;   in Loop: Header=BB2_413 Depth=1
	s_or_b64 exec, exec, s[20:21]
	v_cmp_eq_u32_e32 vcc, 0, v2
	s_xor_b64 s[18:19], s[18:19], -1
	v_cndmask_b32_e32 v34, 0, v59, vcc
	v_cndmask_b32_e64 v2, 0, 1, s[18:19]
	v_lshlrev_b32_e32 v60, 1, v34
	s_mov_b64 s[20:21], -1
	v_cmp_ne_u32_e32 vcc, 0, v2
	v_mov_b32_e32 v16, 0
	s_cbranch_vccz .LBB2_485
; %bb.483:                              ;   in Loop: Header=BB2_413 Depth=1
	v_mov_b32_e32 v17, v35
	s_and_saveexec_b64 s[62:63], s[20:21]
	s_cbranch_execnz .LBB2_624
	s_branch .LBB2_688
.LBB2_484:                              ;   in Loop: Header=BB2_413 Depth=1
	s_mov_b64 s[18:19], 0
	s_and_saveexec_b64 s[20:21], s[10:11]
	s_cbranch_execnz .LBB2_689
	s_branch .LBB2_707
.LBB2_485:                              ;   in Loop: Header=BB2_413 Depth=1
	v_lshrrev_b32_e32 v10, 9, v34
	v_lshlrev_b32_e32 v3, 10, v10
	v_sub_u32_e32 v61, v60, v3
	v_lshrrev_b32_e32 v11, 6, v35
	v_sub_u32_e32 v10, v10, v11
	v_cmp_lt_i32_e64 s[18:19], 15, v61
	v_sub_u32_e32 v2, v60, v43
	v_addc_co_u32_e64 v30, vcc, 0, v10, s[18:19]
	v_cmp_lt_i32_e32 vcc, 15, v2
	s_and_saveexec_b64 s[62:63], vcc
	s_cbranch_execz .LBB2_553
; %bb.486:                              ;   in Loop: Header=BB2_413 Depth=1
	s_trap 2
	ds_read_b64 v[10:11], v0
	v_add_co_u32_e32 v52, vcc, v48, v43
	v_addc_co_u32_e32 v53, vcc, 0, v49, vcc
	s_waitcnt lgkmcnt(0)
	v_add_co_u32_e32 v54, vcc, v10, v43
	v_addc_co_u32_e32 v55, vcc, 0, v11, vcc
	v_add_co_u32_e32 v39, vcc, v50, v43
	s_bitcmp1_b32 s92, 0
	v_addc_co_u32_e32 v40, vcc, 0, v51, vcc
	s_mov_b64 s[72:73], 0
	s_cselect_b64 s[74:75], -1, 0
	s_branch .LBB2_489
.LBB2_487:                              ;   in Loop: Header=BB2_489 Depth=2
	s_or_b64 exec, exec, s[78:79]
	v_mov_b32_e32 v17, v13
.LBB2_488:                              ;   in Loop: Header=BB2_489 Depth=2
	v_lshlrev_b32_e32 v11, 16, v11
	v_and_b32_e32 v13, 0xffff, v14
	v_add_co_u32_e32 v52, vcc, v52, v46
	v_lshlrev_b32_e32 v10, 16, v10
	v_and_b32_e32 v14, 0xffff, v31
	v_or3_b32 v11, v11, v13, 0
	v_lshlrev_b32_e32 v12, 16, v12
	v_and_b32_e32 v13, 0xffff, v15
	v_addc_co_u32_e32 v53, vcc, 0, v53, vcc
	v_or_b32_e32 v10, v10, v14
	v_or_b32_e32 v12, v12, v13
	v_lshlrev_b32_e32 v13, 16, v17
	v_and_b32_e32 v14, 0xffff, v16
	v_add_co_u32_e32 v54, vcc, v54, v46
	v_or3_b32 v10, 0, 0, v10
	v_or3_b32 v13, v13, v14, 0
	;; [unrolled: 1-line block ×3, first 2 shown]
	v_addc_co_u32_e32 v55, vcc, 0, v55, vcc
	global_store_dwordx4 v[39:40], v[10:13], off glc slc
	v_add_co_u32_e32 v39, vcc, v39, v46
	v_addc_co_u32_e32 v40, vcc, 0, v40, vcc
	v_sub_u32_e32 v2, v2, v46
	v_cmp_gt_i32_e32 vcc, 16, v2
	s_or_b64 s[72:73], vcc, s[72:73]
	v_sub_u32_e32 v30, v30, v41
	s_andn2_b64 exec, exec, s[72:73]
	s_cbranch_execz .LBB2_552
.LBB2_489:                              ;   Parent Loop BB2_413 Depth=1
                                        ; =>  This Inner Loop Header: Depth=2
	global_load_dwordx4 v[10:13], v[52:53], off glc slc
	global_load_dwordx4 v[14:17], v[54:55], off glc slc
	s_mov_b64 s[78:79], -1
	s_and_b64 vcc, exec, s[74:75]
                                        ; implicit-def: $vgpr31
	s_waitcnt vmcnt(0)
	v_and_b32_e32 v19, 0x7fff, v14
	v_cmp_gt_u16_e64 s[20:21], s95, v19
	v_cmp_lt_u16_e64 s[22:23], s31, v19
	v_and_b32_e32 v19, 0x7fff, v10
	v_cmp_lt_u16_e64 s[24:25], s31, v19
	s_and_b64 s[76:77], s[24:25], s[20:21]
	s_xor_b64 s[76:77], s[76:77], -1
	s_cbranch_vccz .LBB2_493
; %bb.490:                              ;   in Loop: Header=BB2_489 Depth=2
	v_mov_b32_e32 v31, v14
	s_and_saveexec_b64 s[78:79], s[76:77]
; %bb.491:                              ;   in Loop: Header=BB2_489 Depth=2
	v_cmp_gt_f16_e32 vcc, v10, v14
	v_cndmask_b32_e32 v19, v14, v10, vcc
	s_and_b64 vcc, s[24:25], s[22:23]
	v_cndmask_b32_e32 v19, v19, v58, vcc
	s_or_b64 vcc, s[24:25], s[20:21]
	v_cndmask_b32_e32 v31, v10, v19, vcc
; %bb.492:                              ;   in Loop: Header=BB2_489 Depth=2
	s_or_b64 exec, exec, s[78:79]
	s_mov_b64 s[78:79], 0
.LBB2_493:                              ;   in Loop: Header=BB2_489 Depth=2
	s_andn2_b64 vcc, exec, s[78:79]
	s_cbranch_vccnz .LBB2_497
; %bb.494:                              ;   in Loop: Header=BB2_489 Depth=2
	v_mov_b32_e32 v31, v14
	s_and_saveexec_b64 s[78:79], s[76:77]
; %bb.495:                              ;   in Loop: Header=BB2_489 Depth=2
	v_cmp_gt_f16_e32 vcc, v10, v14
	v_cndmask_b32_e32 v19, v10, v14, vcc
	s_and_b64 vcc, s[24:25], s[22:23]
	v_cndmask_b32_e32 v19, v19, v58, vcc
	s_or_b64 vcc, s[24:25], s[20:21]
	v_cndmask_b32_e32 v31, v10, v19, vcc
; %bb.496:                              ;   in Loop: Header=BB2_489 Depth=2
	s_or_b64 exec, exec, s[78:79]
.LBB2_497:                              ;   in Loop: Header=BB2_489 Depth=2
	v_lshrrev_b32_e32 v14, 16, v14
	v_lshrrev_b32_e32 v42, 16, v10
	v_and_b32_e32 v19, 0x7fff, v14
	v_and_b32_e32 v10, 0x7fff, v42
	v_cmp_gt_u16_e64 s[20:21], s95, v19
	v_cmp_lt_u16_e64 s[24:25], s31, v10
	s_and_b64 s[76:77], s[24:25], s[20:21]
	v_cmp_lt_u16_e64 s[22:23], s31, v19
	s_mov_b64 s[78:79], -1
	s_xor_b64 s[76:77], s[76:77], -1
	s_and_b64 vcc, exec, s[74:75]
                                        ; implicit-def: $vgpr10
	s_cbranch_vccz .LBB2_501
; %bb.498:                              ;   in Loop: Header=BB2_489 Depth=2
	v_mov_b32_e32 v10, v14
	s_and_saveexec_b64 s[78:79], s[76:77]
; %bb.499:                              ;   in Loop: Header=BB2_489 Depth=2
	v_cmp_gt_f16_e32 vcc, v42, v14
	v_cndmask_b32_e32 v10, v14, v42, vcc
	s_and_b64 vcc, s[24:25], s[22:23]
	v_cndmask_b32_e32 v10, v10, v58, vcc
	s_or_b64 vcc, s[24:25], s[20:21]
	v_cndmask_b32_e32 v10, v42, v10, vcc
; %bb.500:                              ;   in Loop: Header=BB2_489 Depth=2
	s_or_b64 exec, exec, s[78:79]
	s_mov_b64 s[78:79], 0
.LBB2_501:                              ;   in Loop: Header=BB2_489 Depth=2
	s_andn2_b64 vcc, exec, s[78:79]
	s_cbranch_vccnz .LBB2_505
; %bb.502:                              ;   in Loop: Header=BB2_489 Depth=2
	s_and_saveexec_b64 s[78:79], s[76:77]
; %bb.503:                              ;   in Loop: Header=BB2_489 Depth=2
	v_cmp_gt_f16_e32 vcc, v42, v14
	v_cndmask_b32_e32 v10, v42, v14, vcc
	s_and_b64 vcc, s[24:25], s[22:23]
	v_cndmask_b32_e32 v10, v10, v58, vcc
	s_or_b64 vcc, s[24:25], s[20:21]
	v_cndmask_b32_e32 v14, v42, v10, vcc
; %bb.504:                              ;   in Loop: Header=BB2_489 Depth=2
	s_or_b64 exec, exec, s[78:79]
	v_mov_b32_e32 v10, v14
.LBB2_505:                              ;   in Loop: Header=BB2_489 Depth=2
	v_and_b32_e32 v14, 0x7fff, v15
	v_cmp_gt_u16_e64 s[20:21], s95, v14
	v_cmp_lt_u16_e64 s[22:23], s31, v14
	v_and_b32_e32 v14, 0x7fff, v11
	v_cmp_lt_u16_e64 s[24:25], s31, v14
	s_and_b64 s[76:77], s[24:25], s[20:21]
	s_mov_b64 s[78:79], -1
	s_xor_b64 s[76:77], s[76:77], -1
	s_and_b64 vcc, exec, s[74:75]
                                        ; implicit-def: $vgpr14
	s_cbranch_vccz .LBB2_509
; %bb.506:                              ;   in Loop: Header=BB2_489 Depth=2
	v_mov_b32_e32 v14, v15
	s_and_saveexec_b64 s[78:79], s[76:77]
; %bb.507:                              ;   in Loop: Header=BB2_489 Depth=2
	v_cmp_gt_f16_e32 vcc, v11, v15
	v_cndmask_b32_e32 v14, v15, v11, vcc
	s_and_b64 vcc, s[24:25], s[22:23]
	v_cndmask_b32_e32 v14, v14, v58, vcc
	s_or_b64 vcc, s[24:25], s[20:21]
	v_cndmask_b32_e32 v14, v11, v14, vcc
; %bb.508:                              ;   in Loop: Header=BB2_489 Depth=2
	s_or_b64 exec, exec, s[78:79]
	s_mov_b64 s[78:79], 0
.LBB2_509:                              ;   in Loop: Header=BB2_489 Depth=2
	s_andn2_b64 vcc, exec, s[78:79]
	s_cbranch_vccnz .LBB2_513
; %bb.510:                              ;   in Loop: Header=BB2_489 Depth=2
	v_mov_b32_e32 v14, v15
	s_and_saveexec_b64 s[78:79], s[76:77]
; %bb.511:                              ;   in Loop: Header=BB2_489 Depth=2
	v_cmp_gt_f16_e32 vcc, v11, v15
	v_cndmask_b32_e32 v14, v11, v15, vcc
	s_and_b64 vcc, s[24:25], s[22:23]
	v_cndmask_b32_e32 v14, v14, v58, vcc
	s_or_b64 vcc, s[24:25], s[20:21]
	v_cndmask_b32_e32 v14, v11, v14, vcc
; %bb.512:                              ;   in Loop: Header=BB2_489 Depth=2
	s_or_b64 exec, exec, s[78:79]
.LBB2_513:                              ;   in Loop: Header=BB2_489 Depth=2
	v_lshrrev_b32_e32 v15, 16, v15
	v_lshrrev_b32_e32 v57, 16, v11
	v_and_b32_e32 v11, 0x7fff, v15
	v_cmp_gt_u16_e64 s[20:21], s95, v11
	v_cmp_lt_u16_e64 s[22:23], s31, v11
	v_and_b32_e32 v11, 0x7fff, v57
	v_cmp_lt_u16_e64 s[24:25], s31, v11
	s_and_b64 s[76:77], s[24:25], s[20:21]
	s_mov_b64 s[78:79], -1
	s_xor_b64 s[76:77], s[76:77], -1
	s_and_b64 vcc, exec, s[74:75]
                                        ; implicit-def: $vgpr11
	s_cbranch_vccz .LBB2_517
; %bb.514:                              ;   in Loop: Header=BB2_489 Depth=2
	v_mov_b32_e32 v11, v15
	s_and_saveexec_b64 s[78:79], s[76:77]
; %bb.515:                              ;   in Loop: Header=BB2_489 Depth=2
	v_cmp_gt_f16_e32 vcc, v57, v15
	v_cndmask_b32_e32 v11, v15, v57, vcc
	s_and_b64 vcc, s[24:25], s[22:23]
	v_cndmask_b32_e32 v11, v11, v58, vcc
	s_or_b64 vcc, s[24:25], s[20:21]
	v_cndmask_b32_e32 v11, v57, v11, vcc
; %bb.516:                              ;   in Loop: Header=BB2_489 Depth=2
	s_or_b64 exec, exec, s[78:79]
	s_mov_b64 s[78:79], 0
.LBB2_517:                              ;   in Loop: Header=BB2_489 Depth=2
	s_andn2_b64 vcc, exec, s[78:79]
	s_cbranch_vccnz .LBB2_521
; %bb.518:                              ;   in Loop: Header=BB2_489 Depth=2
	s_and_saveexec_b64 s[78:79], s[76:77]
; %bb.519:                              ;   in Loop: Header=BB2_489 Depth=2
	v_cmp_gt_f16_e32 vcc, v57, v15
	v_cndmask_b32_e32 v11, v57, v15, vcc
	s_and_b64 vcc, s[24:25], s[22:23]
	v_cndmask_b32_e32 v11, v11, v58, vcc
	s_or_b64 vcc, s[24:25], s[20:21]
	v_cndmask_b32_e32 v15, v57, v11, vcc
; %bb.520:                              ;   in Loop: Header=BB2_489 Depth=2
	s_or_b64 exec, exec, s[78:79]
	v_mov_b32_e32 v11, v15
.LBB2_521:                              ;   in Loop: Header=BB2_489 Depth=2
	v_and_b32_e32 v15, 0x7fff, v16
	v_cmp_gt_u16_e64 s[20:21], s95, v15
	v_cmp_lt_u16_e64 s[22:23], s31, v15
	v_and_b32_e32 v15, 0x7fff, v12
	v_cmp_lt_u16_e64 s[24:25], s31, v15
	s_and_b64 s[76:77], s[24:25], s[20:21]
	s_mov_b64 s[78:79], -1
	s_xor_b64 s[76:77], s[76:77], -1
	s_and_b64 vcc, exec, s[74:75]
                                        ; implicit-def: $vgpr15
	s_cbranch_vccz .LBB2_525
; %bb.522:                              ;   in Loop: Header=BB2_489 Depth=2
	v_mov_b32_e32 v15, v16
	s_and_saveexec_b64 s[78:79], s[76:77]
; %bb.523:                              ;   in Loop: Header=BB2_489 Depth=2
	v_cmp_gt_f16_e32 vcc, v12, v16
	v_cndmask_b32_e32 v15, v16, v12, vcc
	s_and_b64 vcc, s[24:25], s[22:23]
	v_cndmask_b32_e32 v15, v15, v58, vcc
	s_or_b64 vcc, s[24:25], s[20:21]
	v_cndmask_b32_e32 v15, v12, v15, vcc
; %bb.524:                              ;   in Loop: Header=BB2_489 Depth=2
	s_or_b64 exec, exec, s[78:79]
	s_mov_b64 s[78:79], 0
.LBB2_525:                              ;   in Loop: Header=BB2_489 Depth=2
	s_andn2_b64 vcc, exec, s[78:79]
	s_cbranch_vccnz .LBB2_529
; %bb.526:                              ;   in Loop: Header=BB2_489 Depth=2
	v_mov_b32_e32 v15, v16
	s_and_saveexec_b64 s[78:79], s[76:77]
; %bb.527:                              ;   in Loop: Header=BB2_489 Depth=2
	v_cmp_gt_f16_e32 vcc, v12, v16
	v_cndmask_b32_e32 v15, v12, v16, vcc
	s_and_b64 vcc, s[24:25], s[22:23]
	v_cndmask_b32_e32 v15, v15, v58, vcc
	s_or_b64 vcc, s[24:25], s[20:21]
	v_cndmask_b32_e32 v15, v12, v15, vcc
; %bb.528:                              ;   in Loop: Header=BB2_489 Depth=2
	s_or_b64 exec, exec, s[78:79]
.LBB2_529:                              ;   in Loop: Header=BB2_489 Depth=2
	v_lshrrev_b32_e32 v16, 16, v16
	v_lshrrev_b32_e32 v57, 16, v12
	v_and_b32_e32 v12, 0x7fff, v16
	v_cmp_gt_u16_e64 s[20:21], s95, v12
	v_cmp_lt_u16_e64 s[22:23], s31, v12
	v_and_b32_e32 v12, 0x7fff, v57
	v_cmp_lt_u16_e64 s[24:25], s31, v12
	s_and_b64 s[76:77], s[24:25], s[20:21]
	s_mov_b64 s[78:79], -1
	s_xor_b64 s[76:77], s[76:77], -1
	s_and_b64 vcc, exec, s[74:75]
                                        ; implicit-def: $vgpr12
	s_cbranch_vccz .LBB2_533
; %bb.530:                              ;   in Loop: Header=BB2_489 Depth=2
	v_mov_b32_e32 v12, v16
	s_and_saveexec_b64 s[78:79], s[76:77]
; %bb.531:                              ;   in Loop: Header=BB2_489 Depth=2
	v_cmp_gt_f16_e32 vcc, v57, v16
	v_cndmask_b32_e32 v12, v16, v57, vcc
	s_and_b64 vcc, s[24:25], s[22:23]
	v_cndmask_b32_e32 v12, v12, v58, vcc
	s_or_b64 vcc, s[24:25], s[20:21]
	v_cndmask_b32_e32 v12, v57, v12, vcc
; %bb.532:                              ;   in Loop: Header=BB2_489 Depth=2
	s_or_b64 exec, exec, s[78:79]
	s_mov_b64 s[78:79], 0
.LBB2_533:                              ;   in Loop: Header=BB2_489 Depth=2
	s_andn2_b64 vcc, exec, s[78:79]
	s_cbranch_vccnz .LBB2_537
; %bb.534:                              ;   in Loop: Header=BB2_489 Depth=2
	s_and_saveexec_b64 s[78:79], s[76:77]
; %bb.535:                              ;   in Loop: Header=BB2_489 Depth=2
	v_cmp_gt_f16_e32 vcc, v57, v16
	v_cndmask_b32_e32 v12, v57, v16, vcc
	s_and_b64 vcc, s[24:25], s[22:23]
	v_cndmask_b32_e32 v12, v12, v58, vcc
	s_or_b64 vcc, s[24:25], s[20:21]
	v_cndmask_b32_e32 v16, v57, v12, vcc
; %bb.536:                              ;   in Loop: Header=BB2_489 Depth=2
	s_or_b64 exec, exec, s[78:79]
	v_mov_b32_e32 v12, v16
.LBB2_537:                              ;   in Loop: Header=BB2_489 Depth=2
	v_and_b32_e32 v16, 0x7fff, v17
	v_cmp_gt_u16_e64 s[20:21], s95, v16
	v_cmp_lt_u16_e64 s[22:23], s31, v16
	v_and_b32_e32 v16, 0x7fff, v13
	v_cmp_lt_u16_e64 s[24:25], s31, v16
	s_and_b64 s[76:77], s[24:25], s[20:21]
	s_mov_b64 s[78:79], -1
	s_xor_b64 s[76:77], s[76:77], -1
	s_and_b64 vcc, exec, s[74:75]
                                        ; implicit-def: $vgpr16
	s_cbranch_vccz .LBB2_541
; %bb.538:                              ;   in Loop: Header=BB2_489 Depth=2
	v_mov_b32_e32 v16, v17
	s_and_saveexec_b64 s[78:79], s[76:77]
; %bb.539:                              ;   in Loop: Header=BB2_489 Depth=2
	v_cmp_gt_f16_e32 vcc, v13, v17
	v_cndmask_b32_e32 v16, v17, v13, vcc
	s_and_b64 vcc, s[24:25], s[22:23]
	v_cndmask_b32_e32 v16, v16, v58, vcc
	s_or_b64 vcc, s[24:25], s[20:21]
	v_cndmask_b32_e32 v16, v13, v16, vcc
; %bb.540:                              ;   in Loop: Header=BB2_489 Depth=2
	s_or_b64 exec, exec, s[78:79]
	s_mov_b64 s[78:79], 0
.LBB2_541:                              ;   in Loop: Header=BB2_489 Depth=2
	s_andn2_b64 vcc, exec, s[78:79]
	s_cbranch_vccnz .LBB2_545
; %bb.542:                              ;   in Loop: Header=BB2_489 Depth=2
	v_mov_b32_e32 v16, v17
	s_and_saveexec_b64 s[78:79], s[76:77]
; %bb.543:                              ;   in Loop: Header=BB2_489 Depth=2
	v_cmp_gt_f16_e32 vcc, v13, v17
	v_cndmask_b32_e32 v16, v13, v17, vcc
	s_and_b64 vcc, s[24:25], s[22:23]
	v_cndmask_b32_e32 v16, v16, v58, vcc
	s_or_b64 vcc, s[24:25], s[20:21]
	v_cndmask_b32_e32 v16, v13, v16, vcc
; %bb.544:                              ;   in Loop: Header=BB2_489 Depth=2
	s_or_b64 exec, exec, s[78:79]
.LBB2_545:                              ;   in Loop: Header=BB2_489 Depth=2
	v_lshrrev_b32_e32 v57, 16, v13
	v_lshrrev_b32_e32 v13, 16, v17
	v_and_b32_e32 v17, 0x7fff, v13
	v_cmp_gt_u16_e64 s[20:21], s95, v17
	v_cmp_lt_u16_e64 s[22:23], s31, v17
	v_and_b32_e32 v17, 0x7fff, v57
	v_cmp_lt_u16_e64 s[24:25], s31, v17
	s_and_b64 s[76:77], s[24:25], s[20:21]
	s_mov_b64 s[78:79], -1
	s_xor_b64 s[76:77], s[76:77], -1
	s_and_b64 vcc, exec, s[74:75]
                                        ; implicit-def: $vgpr17
	s_cbranch_vccz .LBB2_549
; %bb.546:                              ;   in Loop: Header=BB2_489 Depth=2
	v_mov_b32_e32 v17, v13
	s_and_saveexec_b64 s[78:79], s[76:77]
; %bb.547:                              ;   in Loop: Header=BB2_489 Depth=2
	v_cmp_gt_f16_e32 vcc, v57, v13
	v_cndmask_b32_e32 v17, v13, v57, vcc
	s_and_b64 vcc, s[24:25], s[22:23]
	v_cndmask_b32_e32 v17, v17, v58, vcc
	s_or_b64 vcc, s[24:25], s[20:21]
	v_cndmask_b32_e32 v17, v57, v17, vcc
; %bb.548:                              ;   in Loop: Header=BB2_489 Depth=2
	s_or_b64 exec, exec, s[78:79]
	s_mov_b64 s[78:79], 0
.LBB2_549:                              ;   in Loop: Header=BB2_489 Depth=2
	s_andn2_b64 vcc, exec, s[78:79]
	s_cbranch_vccnz .LBB2_488
; %bb.550:                              ;   in Loop: Header=BB2_489 Depth=2
	s_and_saveexec_b64 s[78:79], s[76:77]
	s_cbranch_execz .LBB2_487
; %bb.551:                              ;   in Loop: Header=BB2_489 Depth=2
	v_cmp_gt_f16_e32 vcc, v57, v13
	v_cndmask_b32_e32 v13, v57, v13, vcc
	s_and_b64 vcc, s[24:25], s[22:23]
	v_cndmask_b32_e32 v13, v13, v58, vcc
	s_or_b64 vcc, s[24:25], s[20:21]
	v_cndmask_b32_e32 v13, v57, v13, vcc
	s_branch .LBB2_487
.LBB2_552:                              ;   in Loop: Header=BB2_413 Depth=1
	s_or_b64 exec, exec, s[72:73]
.LBB2_553:                              ;   in Loop: Header=BB2_413 Depth=1
	s_or_b64 exec, exec, s[62:63]
	v_and_b32_e32 v10, 14, v60
	v_cndmask_b32_e64 v2, v61, v10, s[18:19]
	v_mov_b32_e32 v16, 0
	v_cmp_ne_u32_e32 vcc, 0, v2
	s_mov_b64 s[20:21], 0
                                        ; implicit-def: $vgpr60
                                        ; implicit-def: $vgpr17
	s_and_saveexec_b64 s[62:63], vcc
	s_cbranch_execz .LBB2_623
; %bb.554:                              ;   in Loop: Header=BB2_413 Depth=1
	v_sub_u32_e32 v10, v61, v10
	v_cndmask_b32_e64 v10, 0, v10, s[18:19]
	v_cmp_lt_i32_e32 vcc, 0, v30
	v_add_u32_e32 v3, v10, v3
	v_cndmask_b32_e32 v10, 0, v41, vcc
	v_sub_u32_e32 v10, v10, v30
	v_and_b32_e32 v11, 63, v35
	v_lshl_or_b32 v10, v10, 6, v11
	v_ashrrev_i32_e32 v11, 31, v10
	v_lshrrev_b32_e32 v11, 26, v11
	v_add_u32_e32 v11, v10, v11
	v_ashrrev_i32_e32 v12, 6, v11
	v_and_b32_e32 v11, 0xffffffc0, v11
	v_sub_u32_e32 v61, v10, v11
	v_ashrrev_i32_e32 v11, 31, v2
	v_lshrrev_b32_e32 v11, 22, v11
	v_add_u32_e32 v11, v2, v11
	v_and_b32_e32 v30, 0xfffffc00, v11
	v_lshlrev_b32_e32 v10, 4, v61
	v_sub_u32_e32 v31, v2, v30
	v_lshl_add_u32 v10, v12, 10, v10
	v_ashrrev_i32_e32 v13, 10, v11
	v_cmp_lt_i32_e64 s[18:19], 15, v31
	v_sub_u32_e32 v60, v2, v10
	v_addc_co_u32_e64 v11, vcc, 0, v13, s[18:19]
	v_sub_u32_e32 v62, v11, v12
	v_cmp_lt_i32_e32 vcc, 15, v60
	s_and_saveexec_b64 s[72:73], vcc
	s_cbranch_execz .LBB2_622
; %bb.555:                              ;   in Loop: Header=BB2_413 Depth=1
	v_add_u32_e32 v12, v10, v3
	s_trap 2
	ds_read_b64 v[10:11], v0
	v_ashrrev_i32_e32 v13, 31, v12
	v_add_co_u32_e32 v52, vcc, v12, v48
	v_addc_co_u32_e32 v53, vcc, v13, v49, vcc
	s_waitcnt lgkmcnt(0)
	v_add_co_u32_e32 v54, vcc, v10, v12
	v_addc_co_u32_e32 v55, vcc, v11, v13, vcc
	v_add_co_u32_e32 v39, vcc, v12, v50
	s_bitcmp1_b32 s92, 0
	v_addc_co_u32_e32 v40, vcc, v13, v51, vcc
	s_mov_b64 s[74:75], 0
	s_cselect_b64 s[76:77], -1, 0
	s_branch .LBB2_558
.LBB2_556:                              ;   in Loop: Header=BB2_558 Depth=2
	s_or_b64 exec, exec, s[88:89]
	v_mov_b32_e32 v17, v13
.LBB2_557:                              ;   in Loop: Header=BB2_558 Depth=2
	v_lshlrev_b32_e32 v11, 16, v11
	v_and_b32_e32 v13, 0xffff, v14
	v_add_co_u32_e32 v52, vcc, v52, v46
	v_lshlrev_b32_e32 v10, 16, v10
	v_and_b32_e32 v14, 0xffff, v57
	v_or3_b32 v11, v11, v13, 0
	v_lshlrev_b32_e32 v12, 16, v12
	v_and_b32_e32 v13, 0xffff, v15
	v_addc_co_u32_e32 v53, vcc, 0, v53, vcc
	v_or_b32_e32 v10, v10, v14
	v_or_b32_e32 v12, v12, v13
	v_lshlrev_b32_e32 v13, 16, v17
	v_and_b32_e32 v14, 0xffff, v16
	v_add_co_u32_e32 v54, vcc, v54, v46
	v_or3_b32 v10, 0, 0, v10
	v_or3_b32 v13, v13, v14, 0
	;; [unrolled: 1-line block ×3, first 2 shown]
	v_addc_co_u32_e32 v55, vcc, 0, v55, vcc
	global_store_dwordx4 v[39:40], v[10:13], off glc slc
	v_add_co_u32_e32 v39, vcc, v39, v46
	v_addc_co_u32_e32 v40, vcc, 0, v40, vcc
	v_sub_u32_e32 v60, v60, v46
	v_cmp_gt_i32_e32 vcc, 16, v60
	s_or_b64 s[74:75], vcc, s[74:75]
	v_sub_u32_e32 v62, v62, v41
	s_andn2_b64 exec, exec, s[74:75]
	s_cbranch_execz .LBB2_621
.LBB2_558:                              ;   Parent Loop BB2_413 Depth=1
                                        ; =>  This Inner Loop Header: Depth=2
	global_load_dwordx4 v[10:13], v[52:53], off glc slc
	global_load_dwordx4 v[14:17], v[54:55], off glc slc
	s_mov_b64 s[88:89], -1
	s_and_b64 vcc, exec, s[76:77]
                                        ; implicit-def: $vgpr57
	s_waitcnt vmcnt(0)
	v_and_b32_e32 v19, 0x7fff, v14
	v_cmp_gt_u16_e64 s[20:21], s95, v19
	v_cmp_lt_u16_e64 s[22:23], s31, v19
	v_and_b32_e32 v19, 0x7fff, v10
	v_cmp_lt_u16_e64 s[24:25], s31, v19
	s_and_b64 s[78:79], s[24:25], s[20:21]
	s_xor_b64 s[78:79], s[78:79], -1
	s_cbranch_vccz .LBB2_562
; %bb.559:                              ;   in Loop: Header=BB2_558 Depth=2
	v_mov_b32_e32 v57, v14
	s_and_saveexec_b64 s[88:89], s[78:79]
; %bb.560:                              ;   in Loop: Header=BB2_558 Depth=2
	v_cmp_gt_f16_e32 vcc, v10, v14
	v_cndmask_b32_e32 v19, v14, v10, vcc
	s_and_b64 vcc, s[24:25], s[22:23]
	v_cndmask_b32_e32 v19, v19, v58, vcc
	s_or_b64 vcc, s[24:25], s[20:21]
	v_cndmask_b32_e32 v57, v10, v19, vcc
; %bb.561:                              ;   in Loop: Header=BB2_558 Depth=2
	s_or_b64 exec, exec, s[88:89]
	s_mov_b64 s[88:89], 0
.LBB2_562:                              ;   in Loop: Header=BB2_558 Depth=2
	s_andn2_b64 vcc, exec, s[88:89]
	s_cbranch_vccnz .LBB2_566
; %bb.563:                              ;   in Loop: Header=BB2_558 Depth=2
	v_mov_b32_e32 v57, v14
	s_and_saveexec_b64 s[88:89], s[78:79]
; %bb.564:                              ;   in Loop: Header=BB2_558 Depth=2
	v_cmp_gt_f16_e32 vcc, v10, v14
	v_cndmask_b32_e32 v19, v10, v14, vcc
	s_and_b64 vcc, s[24:25], s[22:23]
	v_cndmask_b32_e32 v19, v19, v58, vcc
	s_or_b64 vcc, s[24:25], s[20:21]
	v_cndmask_b32_e32 v57, v10, v19, vcc
; %bb.565:                              ;   in Loop: Header=BB2_558 Depth=2
	s_or_b64 exec, exec, s[88:89]
.LBB2_566:                              ;   in Loop: Header=BB2_558 Depth=2
	v_lshrrev_b32_e32 v14, 16, v14
	v_lshrrev_b32_e32 v42, 16, v10
	v_and_b32_e32 v19, 0x7fff, v14
	v_and_b32_e32 v10, 0x7fff, v42
	v_cmp_gt_u16_e64 s[20:21], s95, v19
	v_cmp_lt_u16_e64 s[24:25], s31, v10
	s_and_b64 s[78:79], s[24:25], s[20:21]
	v_cmp_lt_u16_e64 s[22:23], s31, v19
	s_mov_b64 s[88:89], -1
	s_xor_b64 s[78:79], s[78:79], -1
	s_and_b64 vcc, exec, s[76:77]
                                        ; implicit-def: $vgpr10
	s_cbranch_vccz .LBB2_570
; %bb.567:                              ;   in Loop: Header=BB2_558 Depth=2
	v_mov_b32_e32 v10, v14
	s_and_saveexec_b64 s[88:89], s[78:79]
; %bb.568:                              ;   in Loop: Header=BB2_558 Depth=2
	v_cmp_gt_f16_e32 vcc, v42, v14
	v_cndmask_b32_e32 v10, v14, v42, vcc
	s_and_b64 vcc, s[24:25], s[22:23]
	v_cndmask_b32_e32 v10, v10, v58, vcc
	s_or_b64 vcc, s[24:25], s[20:21]
	v_cndmask_b32_e32 v10, v42, v10, vcc
; %bb.569:                              ;   in Loop: Header=BB2_558 Depth=2
	s_or_b64 exec, exec, s[88:89]
	s_mov_b64 s[88:89], 0
.LBB2_570:                              ;   in Loop: Header=BB2_558 Depth=2
	s_andn2_b64 vcc, exec, s[88:89]
	s_cbranch_vccnz .LBB2_574
; %bb.571:                              ;   in Loop: Header=BB2_558 Depth=2
	s_and_saveexec_b64 s[88:89], s[78:79]
; %bb.572:                              ;   in Loop: Header=BB2_558 Depth=2
	v_cmp_gt_f16_e32 vcc, v42, v14
	v_cndmask_b32_e32 v10, v42, v14, vcc
	s_and_b64 vcc, s[24:25], s[22:23]
	v_cndmask_b32_e32 v10, v10, v58, vcc
	s_or_b64 vcc, s[24:25], s[20:21]
	v_cndmask_b32_e32 v14, v42, v10, vcc
; %bb.573:                              ;   in Loop: Header=BB2_558 Depth=2
	s_or_b64 exec, exec, s[88:89]
	v_mov_b32_e32 v10, v14
.LBB2_574:                              ;   in Loop: Header=BB2_558 Depth=2
	v_and_b32_e32 v14, 0x7fff, v15
	v_cmp_gt_u16_e64 s[20:21], s95, v14
	v_cmp_lt_u16_e64 s[22:23], s31, v14
	v_and_b32_e32 v14, 0x7fff, v11
	v_cmp_lt_u16_e64 s[24:25], s31, v14
	s_and_b64 s[78:79], s[24:25], s[20:21]
	s_mov_b64 s[88:89], -1
	s_xor_b64 s[78:79], s[78:79], -1
	s_and_b64 vcc, exec, s[76:77]
                                        ; implicit-def: $vgpr14
	s_cbranch_vccz .LBB2_578
; %bb.575:                              ;   in Loop: Header=BB2_558 Depth=2
	v_mov_b32_e32 v14, v15
	s_and_saveexec_b64 s[88:89], s[78:79]
; %bb.576:                              ;   in Loop: Header=BB2_558 Depth=2
	v_cmp_gt_f16_e32 vcc, v11, v15
	v_cndmask_b32_e32 v14, v15, v11, vcc
	s_and_b64 vcc, s[24:25], s[22:23]
	v_cndmask_b32_e32 v14, v14, v58, vcc
	s_or_b64 vcc, s[24:25], s[20:21]
	v_cndmask_b32_e32 v14, v11, v14, vcc
; %bb.577:                              ;   in Loop: Header=BB2_558 Depth=2
	s_or_b64 exec, exec, s[88:89]
	s_mov_b64 s[88:89], 0
.LBB2_578:                              ;   in Loop: Header=BB2_558 Depth=2
	s_andn2_b64 vcc, exec, s[88:89]
	s_cbranch_vccnz .LBB2_582
; %bb.579:                              ;   in Loop: Header=BB2_558 Depth=2
	v_mov_b32_e32 v14, v15
	s_and_saveexec_b64 s[88:89], s[78:79]
; %bb.580:                              ;   in Loop: Header=BB2_558 Depth=2
	v_cmp_gt_f16_e32 vcc, v11, v15
	v_cndmask_b32_e32 v14, v11, v15, vcc
	s_and_b64 vcc, s[24:25], s[22:23]
	v_cndmask_b32_e32 v14, v14, v58, vcc
	s_or_b64 vcc, s[24:25], s[20:21]
	v_cndmask_b32_e32 v14, v11, v14, vcc
; %bb.581:                              ;   in Loop: Header=BB2_558 Depth=2
	s_or_b64 exec, exec, s[88:89]
.LBB2_582:                              ;   in Loop: Header=BB2_558 Depth=2
	v_lshrrev_b32_e32 v15, 16, v15
	v_lshrrev_b32_e32 v42, 16, v11
	v_and_b32_e32 v11, 0x7fff, v15
	v_cmp_gt_u16_e64 s[20:21], s95, v11
	v_cmp_lt_u16_e64 s[22:23], s31, v11
	v_and_b32_e32 v11, 0x7fff, v42
	v_cmp_lt_u16_e64 s[24:25], s31, v11
	s_and_b64 s[78:79], s[24:25], s[20:21]
	s_mov_b64 s[88:89], -1
	s_xor_b64 s[78:79], s[78:79], -1
	s_and_b64 vcc, exec, s[76:77]
                                        ; implicit-def: $vgpr11
	s_cbranch_vccz .LBB2_586
; %bb.583:                              ;   in Loop: Header=BB2_558 Depth=2
	v_mov_b32_e32 v11, v15
	s_and_saveexec_b64 s[88:89], s[78:79]
; %bb.584:                              ;   in Loop: Header=BB2_558 Depth=2
	v_cmp_gt_f16_e32 vcc, v42, v15
	v_cndmask_b32_e32 v11, v15, v42, vcc
	s_and_b64 vcc, s[24:25], s[22:23]
	v_cndmask_b32_e32 v11, v11, v58, vcc
	s_or_b64 vcc, s[24:25], s[20:21]
	v_cndmask_b32_e32 v11, v42, v11, vcc
; %bb.585:                              ;   in Loop: Header=BB2_558 Depth=2
	s_or_b64 exec, exec, s[88:89]
	s_mov_b64 s[88:89], 0
.LBB2_586:                              ;   in Loop: Header=BB2_558 Depth=2
	s_andn2_b64 vcc, exec, s[88:89]
	s_cbranch_vccnz .LBB2_590
; %bb.587:                              ;   in Loop: Header=BB2_558 Depth=2
	s_and_saveexec_b64 s[88:89], s[78:79]
; %bb.588:                              ;   in Loop: Header=BB2_558 Depth=2
	v_cmp_gt_f16_e32 vcc, v42, v15
	v_cndmask_b32_e32 v11, v42, v15, vcc
	s_and_b64 vcc, s[24:25], s[22:23]
	v_cndmask_b32_e32 v11, v11, v58, vcc
	s_or_b64 vcc, s[24:25], s[20:21]
	v_cndmask_b32_e32 v15, v42, v11, vcc
; %bb.589:                              ;   in Loop: Header=BB2_558 Depth=2
	s_or_b64 exec, exec, s[88:89]
	v_mov_b32_e32 v11, v15
.LBB2_590:                              ;   in Loop: Header=BB2_558 Depth=2
	v_and_b32_e32 v15, 0x7fff, v16
	v_cmp_gt_u16_e64 s[20:21], s95, v15
	v_cmp_lt_u16_e64 s[22:23], s31, v15
	v_and_b32_e32 v15, 0x7fff, v12
	v_cmp_lt_u16_e64 s[24:25], s31, v15
	s_and_b64 s[78:79], s[24:25], s[20:21]
	s_mov_b64 s[88:89], -1
	s_xor_b64 s[78:79], s[78:79], -1
	s_and_b64 vcc, exec, s[76:77]
                                        ; implicit-def: $vgpr15
	s_cbranch_vccz .LBB2_594
; %bb.591:                              ;   in Loop: Header=BB2_558 Depth=2
	v_mov_b32_e32 v15, v16
	s_and_saveexec_b64 s[88:89], s[78:79]
; %bb.592:                              ;   in Loop: Header=BB2_558 Depth=2
	v_cmp_gt_f16_e32 vcc, v12, v16
	v_cndmask_b32_e32 v15, v16, v12, vcc
	s_and_b64 vcc, s[24:25], s[22:23]
	v_cndmask_b32_e32 v15, v15, v58, vcc
	s_or_b64 vcc, s[24:25], s[20:21]
	v_cndmask_b32_e32 v15, v12, v15, vcc
; %bb.593:                              ;   in Loop: Header=BB2_558 Depth=2
	s_or_b64 exec, exec, s[88:89]
	s_mov_b64 s[88:89], 0
.LBB2_594:                              ;   in Loop: Header=BB2_558 Depth=2
	s_andn2_b64 vcc, exec, s[88:89]
	s_cbranch_vccnz .LBB2_598
; %bb.595:                              ;   in Loop: Header=BB2_558 Depth=2
	v_mov_b32_e32 v15, v16
	s_and_saveexec_b64 s[88:89], s[78:79]
; %bb.596:                              ;   in Loop: Header=BB2_558 Depth=2
	v_cmp_gt_f16_e32 vcc, v12, v16
	v_cndmask_b32_e32 v15, v12, v16, vcc
	s_and_b64 vcc, s[24:25], s[22:23]
	v_cndmask_b32_e32 v15, v15, v58, vcc
	s_or_b64 vcc, s[24:25], s[20:21]
	v_cndmask_b32_e32 v15, v12, v15, vcc
; %bb.597:                              ;   in Loop: Header=BB2_558 Depth=2
	s_or_b64 exec, exec, s[88:89]
.LBB2_598:                              ;   in Loop: Header=BB2_558 Depth=2
	v_lshrrev_b32_e32 v16, 16, v16
	v_lshrrev_b32_e32 v42, 16, v12
	v_and_b32_e32 v12, 0x7fff, v16
	v_cmp_gt_u16_e64 s[20:21], s95, v12
	v_cmp_lt_u16_e64 s[22:23], s31, v12
	v_and_b32_e32 v12, 0x7fff, v42
	v_cmp_lt_u16_e64 s[24:25], s31, v12
	s_and_b64 s[78:79], s[24:25], s[20:21]
	s_mov_b64 s[88:89], -1
	s_xor_b64 s[78:79], s[78:79], -1
	s_and_b64 vcc, exec, s[76:77]
                                        ; implicit-def: $vgpr12
	s_cbranch_vccz .LBB2_602
; %bb.599:                              ;   in Loop: Header=BB2_558 Depth=2
	v_mov_b32_e32 v12, v16
	s_and_saveexec_b64 s[88:89], s[78:79]
; %bb.600:                              ;   in Loop: Header=BB2_558 Depth=2
	v_cmp_gt_f16_e32 vcc, v42, v16
	v_cndmask_b32_e32 v12, v16, v42, vcc
	s_and_b64 vcc, s[24:25], s[22:23]
	v_cndmask_b32_e32 v12, v12, v58, vcc
	s_or_b64 vcc, s[24:25], s[20:21]
	v_cndmask_b32_e32 v12, v42, v12, vcc
; %bb.601:                              ;   in Loop: Header=BB2_558 Depth=2
	s_or_b64 exec, exec, s[88:89]
	s_mov_b64 s[88:89], 0
.LBB2_602:                              ;   in Loop: Header=BB2_558 Depth=2
	s_andn2_b64 vcc, exec, s[88:89]
	s_cbranch_vccnz .LBB2_606
; %bb.603:                              ;   in Loop: Header=BB2_558 Depth=2
	s_and_saveexec_b64 s[88:89], s[78:79]
; %bb.604:                              ;   in Loop: Header=BB2_558 Depth=2
	v_cmp_gt_f16_e32 vcc, v42, v16
	v_cndmask_b32_e32 v12, v42, v16, vcc
	s_and_b64 vcc, s[24:25], s[22:23]
	v_cndmask_b32_e32 v12, v12, v58, vcc
	s_or_b64 vcc, s[24:25], s[20:21]
	v_cndmask_b32_e32 v16, v42, v12, vcc
; %bb.605:                              ;   in Loop: Header=BB2_558 Depth=2
	s_or_b64 exec, exec, s[88:89]
	v_mov_b32_e32 v12, v16
.LBB2_606:                              ;   in Loop: Header=BB2_558 Depth=2
	v_and_b32_e32 v16, 0x7fff, v17
	v_cmp_gt_u16_e64 s[20:21], s95, v16
	v_cmp_lt_u16_e64 s[22:23], s31, v16
	v_and_b32_e32 v16, 0x7fff, v13
	v_cmp_lt_u16_e64 s[24:25], s31, v16
	s_and_b64 s[78:79], s[24:25], s[20:21]
	s_mov_b64 s[88:89], -1
	s_xor_b64 s[78:79], s[78:79], -1
	s_and_b64 vcc, exec, s[76:77]
                                        ; implicit-def: $vgpr16
	s_cbranch_vccz .LBB2_610
; %bb.607:                              ;   in Loop: Header=BB2_558 Depth=2
	v_mov_b32_e32 v16, v17
	s_and_saveexec_b64 s[88:89], s[78:79]
; %bb.608:                              ;   in Loop: Header=BB2_558 Depth=2
	v_cmp_gt_f16_e32 vcc, v13, v17
	v_cndmask_b32_e32 v16, v17, v13, vcc
	s_and_b64 vcc, s[24:25], s[22:23]
	v_cndmask_b32_e32 v16, v16, v58, vcc
	s_or_b64 vcc, s[24:25], s[20:21]
	v_cndmask_b32_e32 v16, v13, v16, vcc
; %bb.609:                              ;   in Loop: Header=BB2_558 Depth=2
	s_or_b64 exec, exec, s[88:89]
	s_mov_b64 s[88:89], 0
.LBB2_610:                              ;   in Loop: Header=BB2_558 Depth=2
	s_andn2_b64 vcc, exec, s[88:89]
	s_cbranch_vccnz .LBB2_614
; %bb.611:                              ;   in Loop: Header=BB2_558 Depth=2
	v_mov_b32_e32 v16, v17
	s_and_saveexec_b64 s[88:89], s[78:79]
; %bb.612:                              ;   in Loop: Header=BB2_558 Depth=2
	v_cmp_gt_f16_e32 vcc, v13, v17
	v_cndmask_b32_e32 v16, v13, v17, vcc
	s_and_b64 vcc, s[24:25], s[22:23]
	v_cndmask_b32_e32 v16, v16, v58, vcc
	s_or_b64 vcc, s[24:25], s[20:21]
	v_cndmask_b32_e32 v16, v13, v16, vcc
; %bb.613:                              ;   in Loop: Header=BB2_558 Depth=2
	s_or_b64 exec, exec, s[88:89]
.LBB2_614:                              ;   in Loop: Header=BB2_558 Depth=2
	v_lshrrev_b32_e32 v42, 16, v13
	v_lshrrev_b32_e32 v13, 16, v17
	v_and_b32_e32 v17, 0x7fff, v13
	v_cmp_gt_u16_e64 s[20:21], s95, v17
	v_cmp_lt_u16_e64 s[22:23], s31, v17
	v_and_b32_e32 v17, 0x7fff, v42
	v_cmp_lt_u16_e64 s[24:25], s31, v17
	s_and_b64 s[78:79], s[24:25], s[20:21]
	s_mov_b64 s[88:89], -1
	s_xor_b64 s[78:79], s[78:79], -1
	s_and_b64 vcc, exec, s[76:77]
                                        ; implicit-def: $vgpr17
	s_cbranch_vccz .LBB2_618
; %bb.615:                              ;   in Loop: Header=BB2_558 Depth=2
	v_mov_b32_e32 v17, v13
	s_and_saveexec_b64 s[88:89], s[78:79]
; %bb.616:                              ;   in Loop: Header=BB2_558 Depth=2
	v_cmp_gt_f16_e32 vcc, v42, v13
	v_cndmask_b32_e32 v17, v13, v42, vcc
	s_and_b64 vcc, s[24:25], s[22:23]
	v_cndmask_b32_e32 v17, v17, v58, vcc
	s_or_b64 vcc, s[24:25], s[20:21]
	v_cndmask_b32_e32 v17, v42, v17, vcc
; %bb.617:                              ;   in Loop: Header=BB2_558 Depth=2
	s_or_b64 exec, exec, s[88:89]
	s_mov_b64 s[88:89], 0
.LBB2_618:                              ;   in Loop: Header=BB2_558 Depth=2
	s_andn2_b64 vcc, exec, s[88:89]
	s_cbranch_vccnz .LBB2_557
; %bb.619:                              ;   in Loop: Header=BB2_558 Depth=2
	s_and_saveexec_b64 s[88:89], s[78:79]
	s_cbranch_execz .LBB2_556
; %bb.620:                              ;   in Loop: Header=BB2_558 Depth=2
	v_cmp_gt_f16_e32 vcc, v42, v13
	v_cndmask_b32_e32 v13, v42, v13, vcc
	s_and_b64 vcc, s[24:25], s[22:23]
	v_cndmask_b32_e32 v13, v13, v58, vcc
	s_or_b64 vcc, s[24:25], s[20:21]
	v_cndmask_b32_e32 v13, v42, v13, vcc
	s_branch .LBB2_556
.LBB2_621:                              ;   in Loop: Header=BB2_413 Depth=1
	s_or_b64 exec, exec, s[74:75]
.LBB2_622:                              ;   in Loop: Header=BB2_413 Depth=1
	s_or_b64 exec, exec, s[72:73]
	v_and_b32_e32 v2, 14, v2
	v_cmp_lt_i32_e32 vcc, 0, v62
	v_sub_u32_e32 v10, v31, v2
	v_cndmask_b32_e64 v60, v31, v2, s[18:19]
	v_cndmask_b32_e32 v2, 0, v41, vcc
	v_cndmask_b32_e64 v10, 0, v10, s[18:19]
	v_sub_u32_e32 v2, v2, v62
	v_cmp_ne_u32_e32 vcc, 0, v60
	v_add3_u32 v16, v30, v3, v10
	v_lshl_add_u32 v17, v2, 6, v61
	s_and_b64 s[20:21], vcc, exec
	v_mov_b32_e32 v62, v21
.LBB2_623:                              ;   in Loop: Header=BB2_413 Depth=1
	s_or_b64 exec, exec, s[62:63]
	s_and_saveexec_b64 s[62:63], s[20:21]
	s_cbranch_execz .LBB2_688
.LBB2_624:                              ;   in Loop: Header=BB2_413 Depth=1
	v_ashrrev_i32_e32 v2, 31, v17
	v_ashrrev_i32_e32 v3, 31, v60
	v_lshrrev_b32_e32 v2, 26, v2
	v_lshrrev_b32_e32 v3, 23, v3
	v_add_u32_e32 v10, v17, v2
	v_add_u32_e32 v3, v60, v3
	v_ashrrev_i32_e32 v2, 6, v10
	v_ashrrev_i32_e32 v30, 9, v3
	v_sub_u32_e32 v3, v30, v2
	v_cmp_lt_i32_e32 vcc, 0, v3
	s_and_saveexec_b64 s[72:73], vcc
	s_cbranch_execz .LBB2_676
; %bb.625:                              ;   in Loop: Header=BB2_413 Depth=1
	v_and_b32_e32 v10, 0x7fffffc0, v10
	v_sub_u32_e32 v10, v17, v10
	s_trap 2
	ds_read_b64 v[12:13], v0
	v_lshlrev_b32_e32 v10, 1, v10
	v_lshlrev_b32_e32 v11, 9, v2
	v_add3_u32 v14, v10, v16, v11
	v_ashrrev_i32_e32 v15, 31, v14
	v_add_co_u32_e32 v10, vcc, v14, v48
	v_addc_co_u32_e32 v11, vcc, v15, v49, vcc
	s_waitcnt lgkmcnt(0)
	v_add_co_u32_e32 v12, vcc, v12, v14
	v_addc_co_u32_e32 v13, vcc, v13, v15, vcc
	v_add_co_u32_e32 v14, vcc, v14, v50
	s_bitcmp1_b32 s92, 0
	v_addc_co_u32_e32 v15, vcc, v15, v51, vcc
	s_mov_b64 s[74:75], 0
	s_cselect_b64 s[76:77], -1, 0
	s_branch .LBB2_629
.LBB2_626:                              ;   in Loop: Header=BB2_629 Depth=2
	s_or_b64 exec, exec, s[22:23]
	v_mov_b32_e32 v39, v31
.LBB2_627:                              ;   in Loop: Header=BB2_629 Depth=2
	s_or_b64 exec, exec, s[78:79]
	v_mov_b32_e32 v54, v39
.LBB2_628:                              ;   in Loop: Header=BB2_629 Depth=2
	v_add_co_u32_e32 v10, vcc, v10, v47
	v_addc_co_u32_e32 v11, vcc, 0, v11, vcc
	v_add_co_u32_e32 v12, vcc, v12, v47
	v_addc_co_u32_e32 v13, vcc, 0, v13, vcc
	v_sub_u32_e32 v3, v3, v41
	v_cmp_gt_i32_e32 vcc, 1, v3
	flat_store_short v[14:15], v53 glc slc
	flat_store_short v[14:15], v57 offset:128 glc slc
	flat_store_short v[14:15], v55 offset:256 glc slc
	flat_store_short v[14:15], v54 offset:384 glc slc
	s_or_b64 s[74:75], vcc, s[74:75]
	v_add_co_u32_e32 v14, vcc, v14, v47
	v_addc_co_u32_e32 v15, vcc, 0, v15, vcc
	s_andn2_b64 exec, exec, s[74:75]
	s_cbranch_execz .LBB2_675
.LBB2_629:                              ;   Parent Loop BB2_413 Depth=1
                                        ; =>  This Inner Loop Header: Depth=2
	flat_load_ushort v57, v[10:11] glc slc
	flat_load_ushort v55, v[10:11] offset:128 glc slc
	flat_load_ushort v52, v[10:11] offset:256 glc slc
	;; [unrolled: 1-line block ×3, first 2 shown]
	flat_load_ushort v61, v[12:13] glc slc
	flat_load_ushort v40, v[12:13] offset:128 glc slc
	flat_load_ushort v54, v[12:13] offset:256 glc slc
	;; [unrolled: 1-line block ×3, first 2 shown]
	s_mov_b64 s[22:23], -1
	s_and_b64 vcc, exec, s[76:77]
                                        ; implicit-def: $vgpr53
	s_waitcnt vmcnt(0) lgkmcnt(0)
	v_and_b32_e32 v19, 0x7fff, v57
	v_cmp_lt_u16_e64 s[18:19], s31, v19
	v_and_b32_e32 v62, 0x7fff, v61
	v_cmp_gt_u16_e64 s[20:21], s95, v62
	s_and_b64 s[24:25], s[18:19], s[20:21]
	s_xor_b64 s[24:25], s[24:25], -1
	s_cbranch_vccz .LBB2_635
; %bb.630:                              ;   in Loop: Header=BB2_629 Depth=2
	v_mov_b32_e32 v53, v61
	s_and_saveexec_b64 s[78:79], s[24:25]
	s_cbranch_execz .LBB2_634
; %bb.631:                              ;   in Loop: Header=BB2_629 Depth=2
	s_or_b64 s[22:23], s[18:19], s[20:21]
	v_mov_b32_e32 v53, v57
	s_and_saveexec_b64 s[88:89], s[22:23]
; %bb.632:                              ;   in Loop: Header=BB2_629 Depth=2
	v_cmp_lt_u16_e32 vcc, s31, v62
	v_cmp_gt_f16_e64 s[22:23], v57, v61
	v_cndmask_b32_e64 v19, v61, v57, s[22:23]
	s_and_b64 vcc, s[18:19], vcc
	v_cndmask_b32_e32 v53, v19, v58, vcc
; %bb.633:                              ;   in Loop: Header=BB2_629 Depth=2
	s_or_b64 exec, exec, s[88:89]
.LBB2_634:                              ;   in Loop: Header=BB2_629 Depth=2
	s_or_b64 exec, exec, s[78:79]
	s_mov_b64 s[22:23], 0
.LBB2_635:                              ;   in Loop: Header=BB2_629 Depth=2
	s_andn2_b64 vcc, exec, s[22:23]
	s_cbranch_vccnz .LBB2_641
; %bb.636:                              ;   in Loop: Header=BB2_629 Depth=2
	s_and_saveexec_b64 s[22:23], s[24:25]
	s_cbranch_execz .LBB2_640
; %bb.637:                              ;   in Loop: Header=BB2_629 Depth=2
	s_or_b64 s[20:21], s[18:19], s[20:21]
	s_and_saveexec_b64 s[24:25], s[20:21]
; %bb.638:                              ;   in Loop: Header=BB2_629 Depth=2
	v_cmp_lt_u16_e32 vcc, s31, v62
	v_cmp_gt_f16_e64 s[20:21], v57, v61
	v_cndmask_b32_e64 v19, v57, v61, s[20:21]
	s_and_b64 vcc, s[18:19], vcc
	v_cndmask_b32_e32 v57, v19, v58, vcc
; %bb.639:                              ;   in Loop: Header=BB2_629 Depth=2
	s_or_b64 exec, exec, s[24:25]
	v_mov_b32_e32 v61, v57
.LBB2_640:                              ;   in Loop: Header=BB2_629 Depth=2
	s_or_b64 exec, exec, s[22:23]
	v_mov_b32_e32 v53, v61
.LBB2_641:                              ;   in Loop: Header=BB2_629 Depth=2
	v_and_b32_e32 v19, 0x7fff, v55
	v_and_b32_e32 v61, 0x7fff, v40
	v_cmp_lt_u16_e64 s[20:21], s31, v19
	v_cmp_gt_u16_e64 s[22:23], s95, v61
	s_and_b64 s[18:19], s[20:21], s[22:23]
	v_cndmask_b32_e64 v19, 0, 1, s[76:77]
	s_mov_b64 s[24:25], -1
	s_xor_b64 s[78:79], s[18:19], -1
	v_cmp_ne_u32_e64 s[18:19], 1, v19
	s_andn2_b64 vcc, exec, s[76:77]
                                        ; implicit-def: $vgpr57
	s_cbranch_vccnz .LBB2_647
; %bb.642:                              ;   in Loop: Header=BB2_629 Depth=2
	v_mov_b32_e32 v57, v40
	s_and_saveexec_b64 s[88:89], s[78:79]
	s_cbranch_execz .LBB2_646
; %bb.643:                              ;   in Loop: Header=BB2_629 Depth=2
	s_or_b64 s[24:25], s[20:21], s[22:23]
	v_mov_b32_e32 v57, v55
	s_and_saveexec_b64 s[90:91], s[24:25]
; %bb.644:                              ;   in Loop: Header=BB2_629 Depth=2
	v_cmp_lt_u16_e32 vcc, s31, v61
	v_cmp_gt_f16_e64 s[24:25], v55, v40
	v_cndmask_b32_e64 v19, v40, v55, s[24:25]
	s_and_b64 vcc, s[20:21], vcc
	v_cndmask_b32_e32 v57, v19, v58, vcc
; %bb.645:                              ;   in Loop: Header=BB2_629 Depth=2
	s_or_b64 exec, exec, s[90:91]
.LBB2_646:                              ;   in Loop: Header=BB2_629 Depth=2
	s_or_b64 exec, exec, s[88:89]
	s_mov_b64 s[24:25], 0
.LBB2_647:                              ;   in Loop: Header=BB2_629 Depth=2
	s_andn2_b64 vcc, exec, s[24:25]
	s_cbranch_vccnz .LBB2_653
; %bb.648:                              ;   in Loop: Header=BB2_629 Depth=2
	s_and_saveexec_b64 s[24:25], s[78:79]
	s_cbranch_execz .LBB2_652
; %bb.649:                              ;   in Loop: Header=BB2_629 Depth=2
	s_or_b64 s[22:23], s[20:21], s[22:23]
	s_and_saveexec_b64 s[78:79], s[22:23]
; %bb.650:                              ;   in Loop: Header=BB2_629 Depth=2
	v_cmp_lt_u16_e32 vcc, s31, v61
	v_cmp_gt_f16_e64 s[22:23], v55, v40
	v_cndmask_b32_e64 v19, v55, v40, s[22:23]
	s_and_b64 vcc, s[20:21], vcc
	v_cndmask_b32_e32 v55, v19, v58, vcc
; %bb.651:                              ;   in Loop: Header=BB2_629 Depth=2
	s_or_b64 exec, exec, s[78:79]
	v_mov_b32_e32 v40, v55
.LBB2_652:                              ;   in Loop: Header=BB2_629 Depth=2
	s_or_b64 exec, exec, s[24:25]
	v_mov_b32_e32 v57, v40
.LBB2_653:                              ;   in Loop: Header=BB2_629 Depth=2
	v_and_b32_e32 v19, 0x7fff, v52
	v_and_b32_e32 v40, 0x7fff, v54
	v_cmp_lt_u16_e64 s[20:21], s31, v19
	v_cmp_gt_u16_e64 s[22:23], s95, v40
	s_and_b64 s[78:79], s[20:21], s[22:23]
	s_mov_b64 s[24:25], -1
	s_and_b64 vcc, exec, s[18:19]
	s_xor_b64 s[78:79], s[78:79], -1
                                        ; implicit-def: $vgpr55
	s_cbranch_vccnz .LBB2_659
; %bb.654:                              ;   in Loop: Header=BB2_629 Depth=2
	v_mov_b32_e32 v55, v54
	s_and_saveexec_b64 s[88:89], s[78:79]
	s_cbranch_execz .LBB2_658
; %bb.655:                              ;   in Loop: Header=BB2_629 Depth=2
	s_or_b64 s[24:25], s[20:21], s[22:23]
	v_mov_b32_e32 v55, v52
	s_and_saveexec_b64 s[90:91], s[24:25]
; %bb.656:                              ;   in Loop: Header=BB2_629 Depth=2
	v_cmp_lt_u16_e32 vcc, s31, v40
	v_cmp_gt_f16_e64 s[24:25], v52, v54
	v_cndmask_b32_e64 v19, v54, v52, s[24:25]
	s_and_b64 vcc, s[20:21], vcc
	v_cndmask_b32_e32 v55, v19, v58, vcc
; %bb.657:                              ;   in Loop: Header=BB2_629 Depth=2
	s_or_b64 exec, exec, s[90:91]
.LBB2_658:                              ;   in Loop: Header=BB2_629 Depth=2
	s_or_b64 exec, exec, s[88:89]
	s_mov_b64 s[24:25], 0
.LBB2_659:                              ;   in Loop: Header=BB2_629 Depth=2
	s_andn2_b64 vcc, exec, s[24:25]
	s_cbranch_vccnz .LBB2_665
; %bb.660:                              ;   in Loop: Header=BB2_629 Depth=2
	s_and_saveexec_b64 s[24:25], s[78:79]
	s_cbranch_execz .LBB2_664
; %bb.661:                              ;   in Loop: Header=BB2_629 Depth=2
	s_or_b64 s[22:23], s[20:21], s[22:23]
	s_and_saveexec_b64 s[78:79], s[22:23]
; %bb.662:                              ;   in Loop: Header=BB2_629 Depth=2
	v_cmp_lt_u16_e32 vcc, s31, v40
	v_cmp_gt_f16_e64 s[22:23], v52, v54
	v_cndmask_b32_e64 v19, v52, v54, s[22:23]
	s_and_b64 vcc, s[20:21], vcc
	v_cndmask_b32_e32 v52, v19, v58, vcc
; %bb.663:                              ;   in Loop: Header=BB2_629 Depth=2
	s_or_b64 exec, exec, s[78:79]
	v_mov_b32_e32 v54, v52
.LBB2_664:                              ;   in Loop: Header=BB2_629 Depth=2
	s_or_b64 exec, exec, s[24:25]
	v_mov_b32_e32 v55, v54
.LBB2_665:                              ;   in Loop: Header=BB2_629 Depth=2
	v_and_b32_e32 v19, 0x7fff, v31
	v_and_b32_e32 v52, 0x7fff, v39
	v_cmp_lt_u16_e64 s[20:21], s31, v19
	v_cmp_gt_u16_e64 s[22:23], s95, v52
	s_and_b64 s[24:25], s[20:21], s[22:23]
	s_mov_b64 s[78:79], -1
	s_and_b64 vcc, exec, s[18:19]
	s_xor_b64 s[24:25], s[24:25], -1
                                        ; implicit-def: $vgpr54
	s_cbranch_vccnz .LBB2_671
; %bb.666:                              ;   in Loop: Header=BB2_629 Depth=2
	v_mov_b32_e32 v54, v39
	s_and_saveexec_b64 s[78:79], s[24:25]
	s_cbranch_execz .LBB2_670
; %bb.667:                              ;   in Loop: Header=BB2_629 Depth=2
	s_or_b64 s[18:19], s[20:21], s[22:23]
	v_mov_b32_e32 v54, v31
	s_and_saveexec_b64 s[88:89], s[18:19]
; %bb.668:                              ;   in Loop: Header=BB2_629 Depth=2
	v_cmp_lt_u16_e32 vcc, s31, v52
	v_cmp_gt_f16_e64 s[18:19], v31, v39
	v_cndmask_b32_e64 v19, v39, v31, s[18:19]
	s_and_b64 vcc, s[20:21], vcc
	v_cndmask_b32_e32 v54, v19, v58, vcc
; %bb.669:                              ;   in Loop: Header=BB2_629 Depth=2
	s_or_b64 exec, exec, s[88:89]
.LBB2_670:                              ;   in Loop: Header=BB2_629 Depth=2
	s_or_b64 exec, exec, s[78:79]
	s_mov_b64 s[78:79], 0
.LBB2_671:                              ;   in Loop: Header=BB2_629 Depth=2
	s_andn2_b64 vcc, exec, s[78:79]
	s_cbranch_vccnz .LBB2_628
; %bb.672:                              ;   in Loop: Header=BB2_629 Depth=2
	s_and_saveexec_b64 s[78:79], s[24:25]
	s_cbranch_execz .LBB2_627
; %bb.673:                              ;   in Loop: Header=BB2_629 Depth=2
	s_or_b64 s[18:19], s[20:21], s[22:23]
	s_and_saveexec_b64 s[22:23], s[18:19]
	s_cbranch_execz .LBB2_626
; %bb.674:                              ;   in Loop: Header=BB2_629 Depth=2
	v_cmp_lt_u16_e32 vcc, s31, v52
	v_cmp_gt_f16_e64 s[18:19], v31, v39
	v_cndmask_b32_e64 v19, v31, v39, s[18:19]
	s_and_b64 vcc, s[20:21], vcc
	v_cndmask_b32_e32 v31, v19, v58, vcc
	s_branch .LBB2_626
.LBB2_675:                              ;   in Loop: Header=BB2_413 Depth=1
	s_or_b64 exec, exec, s[74:75]
	v_mov_b32_e32 v62, v21
.LBB2_676:                              ;   in Loop: Header=BB2_413 Depth=1
	s_or_b64 exec, exec, s[72:73]
	v_lshlrev_b32_e32 v10, 9, v30
	v_cmp_ne_u32_e32 vcc, v60, v10
	s_and_b64 exec, exec, vcc
	s_cbranch_execz .LBB2_688
; %bb.677:                              ;   in Loop: Header=BB2_413 Depth=1
	v_lshlrev_b32_e32 v2, 6, v2
	v_sub_u32_e32 v2, v17, v2
	v_lshlrev_b32_e32 v3, 6, v3
	v_sub_u32_e32 v2, v2, v3
	v_ashrrev_i32_e32 v3, 31, v2
	v_lshrrev_b32_e32 v3, 26, v3
	v_add_u32_e32 v3, v2, v3
	v_and_b32_e32 v11, 0x7fffffc0, v3
	v_sub_u32_e32 v2, v2, v11
	v_lshlrev_b32_e32 v3, 1, v3
	v_and_b32_e32 v3, 0xffffff80, v3
	v_lshlrev_b32_e32 v2, 1, v2
	v_add3_u32 v3, v3, v2, v10
	v_sub_u32_e32 v2, v60, v3
	v_cmp_lt_i32_e32 vcc, 1, v2
	s_and_b64 exec, exec, vcc
	s_cbranch_execz .LBB2_688
; %bb.678:                              ;   in Loop: Header=BB2_413 Depth=1
	s_trap 2
	ds_read_b64 v[12:13], v0
	v_add_u32_e32 v3, v3, v16
	v_ashrrev_i32_e32 v15, 31, v3
	v_add_co_u32_e32 v10, vcc, v3, v48
	v_addc_co_u32_e32 v11, vcc, v15, v49, vcc
	s_waitcnt lgkmcnt(0)
	v_add_co_u32_e32 v12, vcc, v12, v3
	v_addc_co_u32_e32 v13, vcc, v13, v15, vcc
	v_add_co_u32_e32 v14, vcc, v3, v50
	s_bitcmp1_b32 s92, 0
	v_addc_co_u32_e32 v15, vcc, v15, v51, vcc
	s_mov_b64 s[24:25], 0
	s_cselect_b64 s[72:73], -1, 0
	s_branch .LBB2_681
.LBB2_679:                              ;   in Loop: Header=BB2_681 Depth=2
	s_or_b64 exec, exec, s[76:77]
	v_mov_b32_e32 v17, v3
.LBB2_680:                              ;   in Loop: Header=BB2_681 Depth=2
	v_add_co_u32_e32 v10, vcc, v10, v56
	v_addc_co_u32_e32 v11, vcc, 0, v11, vcc
	v_add_co_u32_e32 v12, vcc, v12, v56
	v_addc_co_u32_e32 v13, vcc, 0, v13, vcc
	v_sub_u32_e32 v2, v2, v56
	v_cmp_gt_i32_e32 vcc, 2, v2
	flat_store_short v[14:15], v17 glc slc
	s_or_b64 s[24:25], vcc, s[24:25]
	v_add_co_u32_e32 v14, vcc, v14, v56
	v_addc_co_u32_e32 v15, vcc, 0, v15, vcc
	s_andn2_b64 exec, exec, s[24:25]
	s_cbranch_execz .LBB2_688
.LBB2_681:                              ;   Parent Loop BB2_413 Depth=1
                                        ; =>  This Inner Loop Header: Depth=2
	flat_load_ushort v3, v[12:13] glc slc
	flat_load_ushort v16, v[10:11] glc slc
	s_mov_b64 s[76:77], -1
	s_and_b64 vcc, exec, s[72:73]
                                        ; implicit-def: $vgpr17
	s_waitcnt vmcnt(0) lgkmcnt(0)
	v_and_b32_e32 v19, 0x7fff, v3
	v_and_b32_e32 v20, 0x7fff, v16
	v_cmp_gt_u16_e64 s[18:19], s95, v19
	v_cmp_lt_u16_e64 s[20:21], s31, v20
	s_and_b64 s[74:75], s[20:21], s[18:19]
	v_cmp_lt_u16_e64 s[22:23], s31, v19
	s_xor_b64 s[74:75], s[74:75], -1
	s_cbranch_vccz .LBB2_685
; %bb.682:                              ;   in Loop: Header=BB2_681 Depth=2
	v_mov_b32_e32 v17, v3
	s_and_saveexec_b64 s[76:77], s[74:75]
; %bb.683:                              ;   in Loop: Header=BB2_681 Depth=2
	v_cmp_gt_f16_e32 vcc, v16, v3
	v_cndmask_b32_e32 v17, v3, v16, vcc
	s_and_b64 vcc, s[20:21], s[22:23]
	v_cndmask_b32_e32 v17, v17, v58, vcc
	s_or_b64 vcc, s[20:21], s[18:19]
	v_cndmask_b32_e32 v17, v16, v17, vcc
; %bb.684:                              ;   in Loop: Header=BB2_681 Depth=2
	s_or_b64 exec, exec, s[76:77]
	s_mov_b64 s[76:77], 0
.LBB2_685:                              ;   in Loop: Header=BB2_681 Depth=2
	s_andn2_b64 vcc, exec, s[76:77]
	s_cbranch_vccnz .LBB2_680
; %bb.686:                              ;   in Loop: Header=BB2_681 Depth=2
	s_and_saveexec_b64 s[76:77], s[74:75]
	s_cbranch_execz .LBB2_679
; %bb.687:                              ;   in Loop: Header=BB2_681 Depth=2
	v_cmp_gt_f16_e32 vcc, v16, v3
	v_cndmask_b32_e32 v3, v16, v3, vcc
	s_and_b64 vcc, s[20:21], s[22:23]
	v_cndmask_b32_e32 v3, v3, v58, vcc
	s_or_b64 vcc, s[20:21], s[18:19]
	v_cndmask_b32_e32 v3, v16, v3, vcc
	s_branch .LBB2_679
.LBB2_688:                              ;   in Loop: Header=BB2_413 Depth=1
	s_or_b64 exec, exec, s[62:63]
	v_cmp_ne_u32_e64 s[18:19], 0, v34
	s_and_saveexec_b64 s[20:21], s[10:11]
	s_cbranch_execz .LBB2_707
.LBB2_689:                              ;   in Loop: Header=BB2_413 Depth=1
	s_and_saveexec_b64 s[22:23], s[44:45]
	s_xor_b64 s[22:23], exec, s[22:23]
	s_cbranch_execz .LBB2_704
; %bb.690:                              ;   in Loop: Header=BB2_413 Depth=1
	s_and_saveexec_b64 s[24:25], s[12:13]
	s_cbranch_execz .LBB2_703
; %bb.691:                              ;   in Loop: Header=BB2_413 Depth=1
	s_mov_b64 s[72:73], exec
	v_mbcnt_lo_u32_b32 v2, s72, 0
	v_mbcnt_hi_u32_b32 v2, s73, v2
	v_cmp_eq_u32_e32 vcc, 0, v2
	s_waitcnt vmcnt(0) lgkmcnt(0)
	buffer_wbinvl1_vol
	s_and_saveexec_b64 s[62:63], vcc
	s_cbranch_execz .LBB2_693
; %bb.692:                              ;   in Loop: Header=BB2_413 Depth=1
	s_bcnt1_i32_b64 s72, s[72:73]
	v_mov_b32_e32 v17, s72
	ds_add_u64 v0, v[17:18]
	s_trap 2
.LBB2_693:                              ;   in Loop: Header=BB2_413 Depth=1
	s_or_b64 exec, exec, s[62:63]
	s_trap 2
	ds_read_b64 v[2:3], v0
	s_waitcnt lgkmcnt(0)
	v_add_co_u32_e32 v26, vcc, v26, v41
	v_addc_co_u32_e32 v27, vcc, 0, v27, vcc
	v_cmp_lt_u64_e32 vcc, v[2:3], v[26:27]
	s_and_saveexec_b64 s[62:63], vcc
	s_cbranch_execz .LBB2_702
; %bb.694:                              ;   in Loop: Header=BB2_413 Depth=1
	s_mov_b32 s92, 0
	s_mov_b64 s[72:73], 0
                                        ; implicit-def: $sgpr74_sgpr75
                                        ; implicit-def: $sgpr76_sgpr77
	s_branch .LBB2_696
.LBB2_695:                              ;   in Loop: Header=BB2_696 Depth=2
	s_or_b64 exec, exec, s[88:89]
	s_and_b64 s[78:79], exec, s[90:91]
	s_or_b64 s[72:73], s[78:79], s[72:73]
	s_andn2_b64 s[74:75], s[74:75], exec
	s_and_b64 s[78:79], s[76:77], exec
	s_or_b64 s[74:75], s[74:75], s[78:79]
	s_andn2_b64 exec, exec, s[72:73]
	s_cbranch_execz .LBB2_700
.LBB2_696:                              ;   Parent Loop BB2_413 Depth=1
                                        ; =>  This Inner Loop Header: Depth=2
	s_add_i32 s92, s92, 1
	s_cmpk_lg_i32 s92, 0x2710
	s_cselect_b64 s[78:79], -1, 0
	s_and_b64 vcc, exec, s[78:79]
	s_cbranch_vccz .LBB2_698
; %bb.697:                              ;   in Loop: Header=BB2_696 Depth=2
	s_mov_b64 s[90:91], -1
	s_or_b64 s[76:77], s[76:77], exec
	s_and_saveexec_b64 s[88:89], s[78:79]
	s_cbranch_execz .LBB2_695
	s_branch .LBB2_699
.LBB2_698:                              ;   in Loop: Header=BB2_696 Depth=2
	s_trap 2
	ds_read_b64 v[2:3], v0
	s_andn2_b64 s[78:79], s[78:79], exec
	s_mov_b32 s92, 0
	s_waitcnt lgkmcnt(0)
	flat_load_dword v2, v[2:3] glc
	s_waitcnt vmcnt(0) lgkmcnt(0)
	buffer_wbinvl1_vol
	v_cmp_eq_u32_e32 vcc, 0, v2
	s_and_b64 s[88:89], vcc, exec
	s_or_b64 s[78:79], s[78:79], s[88:89]
	s_mov_b64 s[90:91], -1
	s_or_b64 s[76:77], s[76:77], exec
	s_and_saveexec_b64 s[88:89], s[78:79]
	s_cbranch_execz .LBB2_695
.LBB2_699:                              ;   in Loop: Header=BB2_696 Depth=2
	s_sleep 1
	s_trap 2
	ds_read_b64 v[2:3], v0
	s_waitcnt lgkmcnt(0)
	s_andn2_b64 s[76:77], s[76:77], exec
	v_cmp_ge_u64_e32 vcc, v[2:3], v[26:27]
	s_orn2_b64 s[90:91], vcc, exec
	s_branch .LBB2_695
.LBB2_700:                              ;   in Loop: Header=BB2_413 Depth=1
	s_or_b64 exec, exec, s[72:73]
	s_and_saveexec_b64 s[72:73], s[74:75]
	s_xor_b64 s[72:73], exec, s[72:73]
	s_cbranch_execz .LBB2_702
; %bb.701:                              ;   in Loop: Header=BB2_413 Depth=1
	v_mov_b32_e32 v2, 1
	ds_write_b32 v0, v2
	s_trap 2
.LBB2_702:                              ;   in Loop: Header=BB2_413 Depth=1
	s_or_b64 exec, exec, s[62:63]
	;;#ASMSTART
	s_wakeup
	;;#ASMEND
.LBB2_703:                              ;   in Loop: Header=BB2_413 Depth=1
	s_or_b64 exec, exec, s[24:25]
.LBB2_704:                              ;   in Loop: Header=BB2_413 Depth=1
	s_andn2_saveexec_b64 s[22:23], s[22:23]
	s_cbranch_execz .LBB2_706
; %bb.705:                              ;   in Loop: Header=BB2_413 Depth=1
	s_waitcnt vmcnt(0) lgkmcnt(0)
	buffer_wbinvl1_vol
	s_barrier
.LBB2_706:                              ;   in Loop: Header=BB2_413 Depth=1
	s_or_b64 exec, exec, s[22:23]
.LBB2_707:                              ;   in Loop: Header=BB2_413 Depth=1
	s_or_b64 exec, exec, s[20:21]
	v_and_b32_e32 v2, 16, v44
	v_cmp_ne_u32_e32 vcc, 0, v2
	s_and_b64 s[20:21], vcc, s[18:19]
	s_and_saveexec_b64 s[18:19], s[20:21]
	s_cbranch_execz .LBB2_709
; %bb.708:                              ;   in Loop: Header=BB2_413 Depth=1
	s_waitcnt vmcnt(0) lgkmcnt(0)
	buffer_wbinvl1_vol
.LBB2_709:                              ;   in Loop: Header=BB2_413 Depth=1
	s_or_b64 exec, exec, s[18:19]
	v_and_b32_e32 v2, 32, v44
	v_cmp_ne_u32_e32 vcc, 0, v2
	s_and_saveexec_b64 s[18:19], vcc
	s_cbranch_execz .LBB2_711
; %bb.710:                              ;   in Loop: Header=BB2_413 Depth=1
	v_add_co_u32_e32 v8, vcc, 1, v8
	v_addc_co_u32_e32 v9, vcc, 0, v9, vcc
	flat_store_dwordx2 v[22:23], v[8:9]
.LBB2_711:                              ;   in Loop: Header=BB2_413 Depth=1
	s_or_b64 exec, exec, s[18:19]
	v_mov_b32_e32 v2, v59
.LBB2_712:                              ;   in Loop: Header=BB2_413 Depth=1
	s_or_b64 exec, exec, s[60:61]
	s_and_saveexec_b64 s[20:21], s[58:59]
	s_cbranch_execz .LBB2_412
; %bb.713:                              ;   in Loop: Header=BB2_413 Depth=1
	v_and_b32_e32 v3, 4, v44
	v_cmp_ne_u32_e32 vcc, 0, v3
	s_and_saveexec_b64 s[22:23], vcc
	s_cbranch_execz .LBB2_735
; %bb.714:                              ;   in Loop: Header=BB2_413 Depth=1
	s_waitcnt lgkmcnt(0)
	v_add_co_u32_e32 v10, vcc, 1, v8
	v_addc_co_u32_e32 v11, vcc, 0, v9, vcc
	s_waitcnt vmcnt(0)
	v_cmp_lt_u64_e32 vcc, v[28:29], v[10:11]
	s_and_saveexec_b64 s[24:25], vcc
	s_cbranch_execz .LBB2_726
; %bb.715:                              ;   in Loop: Header=BB2_413 Depth=1
	v_and_b32_e32 v3, 64, v44
	s_mov_b32 s92, 0
	v_cmp_eq_u32_e32 vcc, 0, v3
	s_mov_b64 s[58:59], 0
                                        ; implicit-def: $sgpr60_sgpr61
                                        ; implicit-def: $sgpr62_sgpr63
                                        ; implicit-def: $sgpr72_sgpr73
	s_branch .LBB2_719
.LBB2_716:                              ;   in Loop: Header=BB2_719 Depth=2
	s_waitcnt vmcnt(0) lgkmcnt(0)
	v_cmp_ge_u64_e64 s[18:19], v[28:29], v[10:11]
	s_or_b64 s[78:79], s[78:79], exec
	s_orn2_b64 s[76:77], s[18:19], exec
.LBB2_717:                              ;   in Loop: Header=BB2_719 Depth=2
	s_or_b64 exec, exec, s[90:91]
	s_andn2_b64 s[18:19], s[72:73], exec
	s_and_b64 s[72:73], s[78:79], exec
	s_or_b64 s[72:73], s[18:19], s[72:73]
	s_andn2_b64 s[18:19], s[62:63], exec
	s_and_b64 s[62:63], s[76:77], exec
	s_or_b64 s[62:63], s[18:19], s[62:63]
.LBB2_718:                              ;   in Loop: Header=BB2_719 Depth=2
	s_or_b64 exec, exec, s[74:75]
	s_and_b64 s[18:19], exec, s[62:63]
	s_or_b64 s[58:59], s[18:19], s[58:59]
	s_andn2_b64 s[18:19], s[60:61], exec
	s_and_b64 s[60:61], s[72:73], exec
	s_or_b64 s[60:61], s[18:19], s[60:61]
	s_andn2_b64 exec, exec, s[58:59]
	s_cbranch_execz .LBB2_723
.LBB2_719:                              ;   Parent Loop BB2_413 Depth=1
                                        ; =>  This Inner Loop Header: Depth=2
	s_sleep 1
	s_waitcnt vmcnt(0) lgkmcnt(0)
	flat_load_dwordx2 v[28:29], v[22:23] glc
	s_or_b64 s[72:73], s[72:73], exec
	s_or_b64 s[62:63], s[62:63], exec
                                        ; implicit-def: $vgpr3
	s_and_saveexec_b64 s[74:75], vcc
	s_cbranch_execz .LBB2_718
; %bb.720:                              ;   in Loop: Header=BB2_719 Depth=2
	s_cmpk_lt_i32 s92, 0x270f
	s_cselect_b64 s[88:89], -1, 0
	s_cmpk_gt_i32 s92, 0x270e
	s_mov_b64 s[76:77], -1
	s_cbranch_scc0 .LBB2_722
; %bb.721:                              ;   in Loop: Header=BB2_719 Depth=2
	s_trap 2
	ds_read_b64 v[12:13], v0
	s_andn2_b64 s[88:89], s[88:89], exec
	s_mov_b32 s92, 0
	s_mov_b64 s[78:79], 0
	s_waitcnt vmcnt(0) lgkmcnt(0)
	flat_load_dword v3, v[12:13] glc
	s_waitcnt vmcnt(0) lgkmcnt(0)
	buffer_wbinvl1_vol
	v_cmp_eq_u32_e64 s[18:19], 0, v3
	s_and_b64 s[18:19], s[18:19], exec
	s_or_b64 s[88:89], s[88:89], s[18:19]
	s_and_saveexec_b64 s[90:91], s[88:89]
	s_cbranch_execz .LBB2_717
	s_branch .LBB2_716
.LBB2_722:                              ;   in Loop: Header=BB2_719 Depth=2
	s_add_i32 s92, s92, 1
	s_mov_b64 s[78:79], -1
                                        ; implicit-def: $vgpr3
	s_and_saveexec_b64 s[90:91], s[88:89]
	s_cbranch_execz .LBB2_717
	s_branch .LBB2_716
.LBB2_723:                              ;   in Loop: Header=BB2_413 Depth=1
	s_or_b64 exec, exec, s[58:59]
	s_xor_b64 s[18:19], s[60:61], -1
	s_and_saveexec_b64 s[58:59], s[18:19]
	s_xor_b64 s[18:19], exec, s[58:59]
	s_cbranch_execz .LBB2_725
; %bb.724:                              ;   in Loop: Header=BB2_413 Depth=1
	v_or_b32_e32 v44, 64, v44
	s_waitcnt lgkmcnt(0)
	ds_write_b32 v0, v3
	s_trap 2
.LBB2_725:                              ;   in Loop: Header=BB2_413 Depth=1
	s_or_b64 exec, exec, s[18:19]
.LBB2_726:                              ;   in Loop: Header=BB2_413 Depth=1
	s_or_b64 exec, exec, s[24:25]
	v_and_b32_e32 v3, 0x100, v44
	v_cmp_ne_u32_e32 vcc, 0, v3
	v_and_b32_e32 v3, 7, v8
	s_mov_b64 s[18:19], -1
	;;#ASMSTART
	s_wakeup
	;;#ASMEND
                                        ; implicit-def: $vgpr8_vgpr9
	s_and_saveexec_b64 s[24:25], vcc
	s_cbranch_execz .LBB2_730
; %bb.727:                              ;   in Loop: Header=BB2_413 Depth=1
	v_mad_u64_u32 v[12:13], s[18:19], v3, 24, v[6:7]
	flat_load_dword v8, v[12:13]
	s_waitcnt vmcnt(0) lgkmcnt(0)
	v_cmp_ne_u32_e32 vcc, 1, v8
	v_cmp_eq_u32_e64 s[18:19], 1, v8
                                        ; implicit-def: $vgpr8_vgpr9
	s_and_saveexec_b64 s[58:59], s[18:19]
	s_cbranch_execz .LBB2_729
; %bb.728:                              ;   in Loop: Header=BB2_413 Depth=1
	flat_load_dword v8, v[12:13] offset:4 glc
	s_waitcnt vmcnt(0) lgkmcnt(0)
	v_ashrrev_i32_e32 v9, 31, v8
	v_lshrrev_b64 v[8:9], 1, v[8:9]
.LBB2_729:                              ;   in Loop: Header=BB2_413 Depth=1
	s_or_b64 exec, exec, s[58:59]
	s_orn2_b64 s[18:19], vcc, exec
.LBB2_730:                              ;   in Loop: Header=BB2_413 Depth=1
	s_or_b64 exec, exec, s[24:25]
	s_and_saveexec_b64 s[24:25], s[18:19]
; %bb.731:                              ;   in Loop: Header=BB2_413 Depth=1
	v_mad_i64_i32 v[8:9], s[18:19], v3, v62, 0
; %bb.732:                              ;   in Loop: Header=BB2_413 Depth=1
	s_or_b64 exec, exec, s[24:25]
	v_lshlrev_b64 v[8:9], 1, v[8:9]
	v_and_b32_e32 v3, 0x2000, v44
	v_add_co_u32_e32 v8, vcc, v24, v8
	v_addc_co_u32_e32 v9, vcc, v25, v9, vcc
	v_cmp_ne_u32_e32 vcc, 0, v3
	ds_write_b64 v0, v[8:9] offset:728
	s_and_saveexec_b64 s[18:19], vcc
	s_cbranch_execz .LBB2_734
; %bb.733:                              ;   in Loop: Header=BB2_413 Depth=1
	ds_read_b64 v[8:9], v0 offset:872
	s_waitcnt lgkmcnt(0)
	v_add_co_u32_e32 v8, vcc, 1, v8
	v_addc_co_u32_e32 v9, vcc, 0, v9, vcc
	ds_write_b64 v0, v[8:9] offset:872
.LBB2_734:                              ;   in Loop: Header=BB2_413 Depth=1
	s_or_b64 exec, exec, s[18:19]
	v_mov_b32_e32 v8, v10
	v_mov_b32_e32 v9, v11
.LBB2_735:                              ;   in Loop: Header=BB2_413 Depth=1
	s_or_b64 exec, exec, s[22:23]
	s_and_saveexec_b64 s[18:19], s[10:11]
	s_cbranch_execz .LBB2_754
; %bb.736:                              ;   in Loop: Header=BB2_413 Depth=1
	s_and_saveexec_b64 s[22:23], s[44:45]
	s_xor_b64 s[22:23], exec, s[22:23]
	s_cbranch_execz .LBB2_751
; %bb.737:                              ;   in Loop: Header=BB2_413 Depth=1
	s_and_saveexec_b64 s[24:25], s[12:13]
	s_cbranch_execz .LBB2_750
; %bb.738:                              ;   in Loop: Header=BB2_413 Depth=1
	s_mov_b64 s[60:61], exec
	v_mbcnt_lo_u32_b32 v3, s60, 0
	v_mbcnt_hi_u32_b32 v3, s61, v3
	v_cmp_eq_u32_e32 vcc, 0, v3
	s_waitcnt vmcnt(0) lgkmcnt(0)
	buffer_wbinvl1_vol
	s_and_saveexec_b64 s[58:59], vcc
	s_cbranch_execz .LBB2_740
; %bb.739:                              ;   in Loop: Header=BB2_413 Depth=1
	s_bcnt1_i32_b64 s60, s[60:61]
	v_mov_b32_e32 v17, s60
	ds_add_u64 v0, v[17:18]
	s_trap 2
.LBB2_740:                              ;   in Loop: Header=BB2_413 Depth=1
	s_or_b64 exec, exec, s[58:59]
	s_trap 2
	ds_read_b64 v[10:11], v0
	s_waitcnt lgkmcnt(0)
	v_add_co_u32_e32 v26, vcc, v26, v41
	v_addc_co_u32_e32 v27, vcc, 0, v27, vcc
	v_cmp_lt_u64_e32 vcc, v[10:11], v[26:27]
	s_and_saveexec_b64 s[58:59], vcc
	s_cbranch_execz .LBB2_749
; %bb.741:                              ;   in Loop: Header=BB2_413 Depth=1
	s_mov_b32 s88, 0
	s_mov_b64 s[60:61], 0
                                        ; implicit-def: $sgpr62_sgpr63
                                        ; implicit-def: $sgpr72_sgpr73
	s_branch .LBB2_743
.LBB2_742:                              ;   in Loop: Header=BB2_743 Depth=2
	s_or_b64 exec, exec, s[76:77]
	s_and_b64 s[74:75], exec, s[78:79]
	s_or_b64 s[60:61], s[74:75], s[60:61]
	s_andn2_b64 s[62:63], s[62:63], exec
	s_and_b64 s[74:75], s[72:73], exec
	s_or_b64 s[62:63], s[62:63], s[74:75]
	s_andn2_b64 exec, exec, s[60:61]
	s_cbranch_execz .LBB2_747
.LBB2_743:                              ;   Parent Loop BB2_413 Depth=1
                                        ; =>  This Inner Loop Header: Depth=2
	s_add_i32 s88, s88, 1
	s_cmpk_lg_i32 s88, 0x2710
	s_cselect_b64 s[74:75], -1, 0
	s_and_b64 vcc, exec, s[74:75]
	s_cbranch_vccz .LBB2_745
; %bb.744:                              ;   in Loop: Header=BB2_743 Depth=2
	s_mov_b64 s[78:79], -1
	s_or_b64 s[72:73], s[72:73], exec
	s_and_saveexec_b64 s[76:77], s[74:75]
	s_cbranch_execz .LBB2_742
	s_branch .LBB2_746
.LBB2_745:                              ;   in Loop: Header=BB2_743 Depth=2
	s_trap 2
	ds_read_b64 v[10:11], v0
	s_andn2_b64 s[74:75], s[74:75], exec
	s_mov_b32 s88, 0
	s_waitcnt lgkmcnt(0)
	flat_load_dword v3, v[10:11] glc
	s_waitcnt vmcnt(0) lgkmcnt(0)
	buffer_wbinvl1_vol
	v_cmp_eq_u32_e32 vcc, 0, v3
	s_and_b64 s[76:77], vcc, exec
	s_or_b64 s[74:75], s[74:75], s[76:77]
	s_mov_b64 s[78:79], -1
	s_or_b64 s[72:73], s[72:73], exec
	s_and_saveexec_b64 s[76:77], s[74:75]
	s_cbranch_execz .LBB2_742
.LBB2_746:                              ;   in Loop: Header=BB2_743 Depth=2
	s_sleep 1
	s_trap 2
	ds_read_b64 v[10:11], v0
	s_waitcnt lgkmcnt(0)
	s_andn2_b64 s[72:73], s[72:73], exec
	v_cmp_ge_u64_e32 vcc, v[10:11], v[26:27]
	s_orn2_b64 s[78:79], vcc, exec
	s_branch .LBB2_742
.LBB2_747:                              ;   in Loop: Header=BB2_413 Depth=1
	s_or_b64 exec, exec, s[60:61]
	s_and_saveexec_b64 s[60:61], s[62:63]
	s_xor_b64 s[60:61], exec, s[60:61]
	s_cbranch_execz .LBB2_749
; %bb.748:                              ;   in Loop: Header=BB2_413 Depth=1
	v_mov_b32_e32 v3, 1
	ds_write_b32 v0, v3
	s_trap 2
.LBB2_749:                              ;   in Loop: Header=BB2_413 Depth=1
	s_or_b64 exec, exec, s[58:59]
	;;#ASMSTART
	s_wakeup
	;;#ASMEND
.LBB2_750:                              ;   in Loop: Header=BB2_413 Depth=1
	s_or_b64 exec, exec, s[24:25]
.LBB2_751:                              ;   in Loop: Header=BB2_413 Depth=1
	s_andn2_saveexec_b64 s[22:23], s[22:23]
	s_cbranch_execz .LBB2_753
; %bb.752:                              ;   in Loop: Header=BB2_413 Depth=1
	s_waitcnt vmcnt(0) lgkmcnt(0)
	buffer_wbinvl1_vol
	s_barrier
.LBB2_753:                              ;   in Loop: Header=BB2_413 Depth=1
	s_or_b64 exec, exec, s[22:23]
.LBB2_754:                              ;   in Loop: Header=BB2_413 Depth=1
	s_or_b64 exec, exec, s[18:19]
	s_trap 2
	ds_read_b32 v3, v0
	v_sub_u32_e32 v2, v38, v2
	v_min_i32_e32 v2, v59, v2
	v_cmp_lt_i32_e32 vcc, 0, v2
	v_and_b32_e32 v2, 16, v44
	s_waitcnt lgkmcnt(0)
	v_readfirstlane_b32 s18, v3
	s_cmp_eq_u32 s18, 0
	s_cselect_b64 s[18:19], -1, 0
	s_and_b64 s[18:19], vcc, s[18:19]
	v_cmp_ne_u32_e32 vcc, 0, v2
	s_and_b64 s[22:23], vcc, s[18:19]
	s_and_saveexec_b64 s[18:19], s[22:23]
	s_cbranch_execz .LBB2_756
; %bb.755:                              ;   in Loop: Header=BB2_413 Depth=1
	s_waitcnt vmcnt(0)
	buffer_wbinvl1_vol
.LBB2_756:                              ;   in Loop: Header=BB2_413 Depth=1
	s_or_b64 exec, exec, s[18:19]
	v_and_b32_e32 v2, 32, v44
	v_cmp_ne_u32_e32 vcc, 0, v2
	s_and_saveexec_b64 s[18:19], vcc
	s_cbranch_execz .LBB2_411
; %bb.757:                              ;   in Loop: Header=BB2_413 Depth=1
	v_add_co_u32_e32 v8, vcc, 1, v8
	v_addc_co_u32_e32 v9, vcc, 0, v9, vcc
	flat_store_dwordx2 v[22:23], v[8:9]
	s_branch .LBB2_411
.LBB2_758:
	s_or_b64 exec, exec, s[46:47]
	buffer_load_dword v31, off, s[0:3], s33 offset:88 ; 4-byte Folded Reload
	buffer_load_dword v59, off, s[0:3], s33 offset:68 ; 4-byte Folded Reload
	;; [unrolled: 1-line block ×4, first 2 shown]
.LBB2_759:
	s_or_b64 exec, exec, s[42:43]
.LBB2_760:
	s_or_b64 exec, exec, s[26:27]
                                        ; implicit-def: $vgpr0_vgpr1
                                        ; implicit-def: $vgpr4_vgpr5
                                        ; implicit-def: $vgpr2_vgpr3
                                        ; kill: killed $vgpr2_vgpr3
                                        ; implicit-def: $vgpr62
                                        ; implicit-def: $vgpr28_vgpr29
                                        ; implicit-def: $vgpr24_vgpr25
                                        ; implicit-def: $vgpr22_vgpr23
                                        ; implicit-def: $vgpr35
                                        ; implicit-def: $vgpr30
                                        ; implicit-def: $vgpr32
.LBB2_761:
	s_andn2_saveexec_b64 s[22:23], s[40:41]
	s_cbranch_execz .LBB2_933
; %bb.762:
	v_mov_b32_e32 v26, 0
	v_cmp_ne_u64_e32 vcc, 0, v[4:5]
	v_mov_b32_e32 v27, 0
	s_and_saveexec_b64 s[24:25], vcc
	s_cbranch_execz .LBB2_932
; %bb.763:
	s_trap 2
	buffer_load_dword v12, off, s[0:3], s33 offset:60 ; 4-byte Folded Reload
	buffer_load_dword v13, off, s[0:3], s33 offset:64 ; 4-byte Folded Reload
	s_waitcnt vmcnt(0)
	v_and_b32_e32 v2, 63, v31
	v_and_b32_e32 v53, 63, v35
	s_lshr_b32 s6, s30, 27
	v_cmp_eq_u32_e64 s[12:13], 0, v2
	v_mov_b32_e32 v11, 0
	v_lshrrev_b32_e32 v54, 6, v35
	v_lshlrev_b32_e32 v2, 4, v53
	s_add_i32 s30, s30, s6
	v_cmp_eq_u32_e32 vcc, 64, v45
	v_lshrrev_b32_e32 v52, 6, v45
	v_lshlrev_b32_e32 v3, 1, v45
	v_lshl_or_b32 v10, v54, 11, v2
	v_mov_b32_e32 v14, 0
	v_mov_b32_e32 v26, 0
	s_ashr_i32 s94, s30, 5
	v_cmp_ge_u32_e64 s[6:7], v35, v45
	v_cmp_ne_u32_e64 s[10:11], 64, v45
	v_cmp_ne_u32_sdwa s[26:27], v45, v59 src0_sel:DWORD src1_sel:WORD_0
	v_cmp_eq_u32_e64 s[14:15], 0, v53
	v_cmp_lt_u32_e64 s[16:17], v53, v30
	v_lshlrev_b32_e32 v55, 10, v52
	v_lshlrev_b32_e32 v40, 9, v52
	v_and_b32_e32 v41, 0x7f80, v3
	s_mov_b64 s[40:41], 0
	v_mov_b32_e32 v15, 0
	v_mov_b32_e32 v27, 0
	;; [unrolled: 1-line block ×3, first 2 shown]
	s_xor_b64 s[42:43], vcc, -1
	v_cmp_ne_u64_e64 s[18:19], 0, v[12:13]
	v_mov_b32_e32 v13, v11
	v_mov_b32_e32 v12, v10
	s_branch .LBB2_767
.LBB2_764:                              ;   in Loop: Header=BB2_767 Depth=1
	s_or_b64 exec, exec, s[44:45]
	v_add_co_u32_e32 v8, vcc, 1, v8
	v_addc_co_u32_e32 v9, vcc, 0, v9, vcc
	flat_store_dwordx2 v[22:23], v[8:9]
.LBB2_765:                              ;   in Loop: Header=BB2_767 Depth=1
	s_or_b64 exec, exec, s[20:21]
.LBB2_766:                              ;   in Loop: Header=BB2_767 Depth=1
	s_or_b64 exec, exec, s[46:47]
	v_add_co_u32_e32 v14, vcc, v14, v32
	v_addc_co_u32_e32 v15, vcc, 0, v15, vcc
	v_cmp_ge_u64_e32 vcc, v[14:15], v[4:5]
	s_or_b64 s[40:41], vcc, s[40:41]
	s_andn2_b64 exec, exec, s[40:41]
	s_cbranch_execz .LBB2_931
.LBB2_767:                              ; =>This Loop Header: Depth=1
                                        ;     Child Loop BB2_776 Depth 2
                                        ;     Child Loop BB2_800 Depth 2
	;; [unrolled: 1-line block ×10, first 2 shown]
	v_sub_co_u32_e32 v2, vcc, v4, v14
	v_subb_co_u32_e32 v3, vcc, v5, v15, vcc
	v_cmp_lt_u64_e32 vcc, v[32:33], v[2:3]
	v_cndmask_b32_e64 v17, v3, 0, vcc
	v_cndmask_b32_e32 v16, v2, v32, vcc
	v_cmp_eq_u64_e32 vcc, 0, v[16:17]
	v_add_u32_e32 v2, 15, v16
	v_and_b32_e32 v2, 0x3ffffff0, v2
	s_or_b64 s[44:45], s[6:7], vcc
	v_max_i32_e32 v2, s94, v2
	s_xor_b64 s[20:21], s[44:45], -1
	v_mov_b32_e32 v3, 0
	s_and_saveexec_b64 s[46:47], s[20:21]
	s_cbranch_execz .LBB2_884
; %bb.768:                              ;   in Loop: Header=BB2_767 Depth=1
	s_and_saveexec_b64 s[20:21], s[4:5]
	s_cbranch_execz .LBB2_770
; %bb.769:                              ;   in Loop: Header=BB2_767 Depth=1
	s_trap 2
	ds_read_b64 v[17:18], v0
	v_lshlrev_b64 v[19:20], 1, v[0:1]
	s_waitcnt lgkmcnt(0)
	v_add_co_u32_e32 v3, vcc, v17, v19
	v_addc_co_u32_e32 v10, vcc, v18, v20, vcc
	v_lshlrev_b64 v[17:18], 1, v[14:15]
	v_add_co_u32_e32 v17, vcc, v3, v17
	v_addc_co_u32_e32 v18, vcc, v10, v18, vcc
	v_mov_b32_e32 v10, v11
	ds_write_b64 v0, v[17:18]
	ds_write_b64 v0, v[10:11]
.LBB2_770:                              ;   in Loop: Header=BB2_767 Depth=1
	s_or_b64 exec, exec, s[20:21]
	v_and_b32_e32 v3, 8, v44
	v_min_u32_e32 v2, v2, v16
	v_cmp_ne_u32_e32 vcc, 0, v3
	s_and_saveexec_b64 s[56:57], vcc
	s_cbranch_execz .LBB2_792
; %bb.771:                              ;   in Loop: Header=BB2_767 Depth=1
	s_waitcnt vmcnt(0)
	v_add_co_u32_e32 v17, vcc, 8, v28
	v_addc_co_u32_e32 v18, vcc, 0, v29, vcc
	s_waitcnt lgkmcnt(0)
	v_add_co_u32_e32 v36, vcc, 1, v8
	v_addc_co_u32_e32 v37, vcc, 0, v9, vcc
	v_cmp_lt_u64_e32 vcc, v[17:18], v[36:37]
	s_and_saveexec_b64 s[58:59], vcc
	s_cbranch_execz .LBB2_783
; %bb.772:                              ;   in Loop: Header=BB2_767 Depth=1
	v_and_b32_e32 v3, 64, v44
	s_mov_b32 s95, 0
	v_cmp_eq_u32_e32 vcc, 0, v3
	s_mov_b64 s[60:61], 0
                                        ; implicit-def: $sgpr62_sgpr63
                                        ; implicit-def: $sgpr72_sgpr73
                                        ; implicit-def: $sgpr74_sgpr75
	s_branch .LBB2_776
.LBB2_773:                              ;   in Loop: Header=BB2_776 Depth=2
	s_waitcnt vmcnt(0) lgkmcnt(0)
	v_add_co_u32_e64 v9, s[20:21], 8, v28
	v_addc_co_u32_e64 v10, s[20:21], 0, v29, s[20:21]
	v_cmp_ge_u64_e64 s[20:21], v[9:10], v[36:37]
	s_or_b64 s[88:89], s[88:89], exec
	s_orn2_b64 s[78:79], s[20:21], exec
.LBB2_774:                              ;   in Loop: Header=BB2_776 Depth=2
	s_or_b64 exec, exec, s[92:93]
	s_andn2_b64 s[20:21], s[74:75], exec
	s_and_b64 s[74:75], s[88:89], exec
	s_or_b64 s[74:75], s[20:21], s[74:75]
	s_andn2_b64 s[20:21], s[72:73], exec
	s_and_b64 s[72:73], s[78:79], exec
	s_or_b64 s[72:73], s[20:21], s[72:73]
.LBB2_775:                              ;   in Loop: Header=BB2_776 Depth=2
	s_or_b64 exec, exec, s[76:77]
	s_and_b64 s[20:21], exec, s[72:73]
	s_or_b64 s[60:61], s[20:21], s[60:61]
	s_andn2_b64 s[20:21], s[62:63], exec
	s_and_b64 s[62:63], s[74:75], exec
	s_or_b64 s[62:63], s[20:21], s[62:63]
	s_andn2_b64 exec, exec, s[60:61]
	s_cbranch_execz .LBB2_780
.LBB2_776:                              ;   Parent Loop BB2_767 Depth=1
                                        ; =>  This Inner Loop Header: Depth=2
	s_sleep 1
	s_waitcnt vmcnt(0) lgkmcnt(0)
	flat_load_dwordx2 v[28:29], v[22:23] glc
	s_or_b64 s[74:75], s[74:75], exec
	s_or_b64 s[72:73], s[72:73], exec
                                        ; implicit-def: $vgpr3
	s_and_saveexec_b64 s[76:77], vcc
	s_cbranch_execz .LBB2_775
; %bb.777:                              ;   in Loop: Header=BB2_776 Depth=2
	s_cmpk_lt_i32 s95, 0x270f
	s_cselect_b64 s[90:91], -1, 0
	s_cmpk_gt_i32 s95, 0x270e
	s_mov_b64 s[78:79], -1
	s_cbranch_scc0 .LBB2_779
; %bb.778:                              ;   in Loop: Header=BB2_776 Depth=2
	s_trap 2
	ds_read_b64 v[9:10], v0
	s_andn2_b64 s[90:91], s[90:91], exec
	s_mov_b32 s95, 0
	s_mov_b64 s[88:89], 0
	s_waitcnt vmcnt(0) lgkmcnt(0)
	flat_load_dword v3, v[9:10] glc
	s_waitcnt vmcnt(0) lgkmcnt(0)
	buffer_wbinvl1_vol
	v_cmp_eq_u32_e64 s[20:21], 0, v3
	s_and_b64 s[20:21], s[20:21], exec
	s_or_b64 s[90:91], s[90:91], s[20:21]
	s_and_saveexec_b64 s[92:93], s[90:91]
	s_cbranch_execz .LBB2_774
	s_branch .LBB2_773
.LBB2_779:                              ;   in Loop: Header=BB2_776 Depth=2
	s_add_i32 s95, s95, 1
	s_mov_b64 s[88:89], -1
                                        ; implicit-def: $vgpr3
	s_and_saveexec_b64 s[92:93], s[90:91]
	s_cbranch_execz .LBB2_774
	s_branch .LBB2_773
.LBB2_780:                              ;   in Loop: Header=BB2_767 Depth=1
	s_or_b64 exec, exec, s[60:61]
	s_xor_b64 s[20:21], s[62:63], -1
	s_and_saveexec_b64 s[60:61], s[20:21]
	s_xor_b64 s[20:21], exec, s[60:61]
	s_cbranch_execz .LBB2_782
; %bb.781:                              ;   in Loop: Header=BB2_767 Depth=1
	v_or_b32_e32 v44, 64, v44
	s_waitcnt lgkmcnt(0)
	ds_write_b32 v0, v3
	s_trap 2
.LBB2_782:                              ;   in Loop: Header=BB2_767 Depth=1
	s_or_b64 exec, exec, s[20:21]
.LBB2_783:                              ;   in Loop: Header=BB2_767 Depth=1
	s_or_b64 exec, exec, s[58:59]
	v_and_b32_e32 v3, 0x100, v44
	v_cmp_ne_u32_e32 vcc, 0, v3
	v_and_b32_e32 v3, 7, v8
	s_mov_b64 s[20:21], -1
	;;#ASMSTART
	s_wakeup
	;;#ASMEND
                                        ; implicit-def: $vgpr8_vgpr9
	s_and_saveexec_b64 s[58:59], vcc
	s_cbranch_execz .LBB2_787
; %bb.784:                              ;   in Loop: Header=BB2_767 Depth=1
	v_mad_u64_u32 v[38:39], s[20:21], v3, 24, v[6:7]
	v_lshlrev_b32_e32 v10, 1, v2
	flat_load_dword v8, v[38:39]
	s_nop 0
	flat_store_dwordx2 v[38:39], v[10:11] offset:8
	s_waitcnt vmcnt(0) lgkmcnt(0)
	v_cmp_ne_u32_e32 vcc, 1, v8
	v_cmp_eq_u32_e64 s[20:21], 1, v8
                                        ; implicit-def: $vgpr8_vgpr9
	s_and_saveexec_b64 s[60:61], s[20:21]
	s_cbranch_execz .LBB2_786
; %bb.785:                              ;   in Loop: Header=BB2_767 Depth=1
	flat_load_dword v8, v[38:39] offset:4 glc
	s_waitcnt vmcnt(0) lgkmcnt(0)
	v_ashrrev_i32_e32 v9, 31, v8
	v_lshrrev_b64 v[8:9], 1, v[8:9]
.LBB2_786:                              ;   in Loop: Header=BB2_767 Depth=1
	s_or_b64 exec, exec, s[60:61]
	s_orn2_b64 s[20:21], vcc, exec
.LBB2_787:                              ;   in Loop: Header=BB2_767 Depth=1
	s_or_b64 exec, exec, s[58:59]
	s_and_saveexec_b64 s[58:59], s[20:21]
; %bb.788:                              ;   in Loop: Header=BB2_767 Depth=1
	v_mad_i64_i32 v[8:9], s[20:21], v3, v62, 0
; %bb.789:                              ;   in Loop: Header=BB2_767 Depth=1
	s_or_b64 exec, exec, s[58:59]
	v_lshlrev_b64 v[8:9], 1, v[8:9]
	v_and_b32_e32 v3, 0x2000, v44
	v_add_co_u32_e32 v8, vcc, v24, v8
	v_addc_co_u32_e32 v9, vcc, v25, v9, vcc
	v_cmp_ne_u32_e32 vcc, 0, v3
	ds_write_b64 v0, v[8:9] offset:784
	s_and_saveexec_b64 s[20:21], vcc
	s_cbranch_execz .LBB2_791
; %bb.790:                              ;   in Loop: Header=BB2_767 Depth=1
	ds_read_b64 v[8:9], v0 offset:872
	s_waitcnt lgkmcnt(0)
	v_add_co_u32_e32 v8, vcc, 1, v8
	v_addc_co_u32_e32 v9, vcc, 0, v9, vcc
	ds_write_b64 v0, v[8:9] offset:872
.LBB2_791:                              ;   in Loop: Header=BB2_767 Depth=1
	s_or_b64 exec, exec, s[20:21]
	v_mov_b32_e32 v8, v36
	v_mov_b32_e32 v9, v37
.LBB2_792:                              ;   in Loop: Header=BB2_767 Depth=1
	s_or_b64 exec, exec, s[56:57]
	s_and_saveexec_b64 s[20:21], s[10:11]
	s_cbranch_execz .LBB2_811
; %bb.793:                              ;   in Loop: Header=BB2_767 Depth=1
	s_and_saveexec_b64 s[56:57], s[26:27]
	s_xor_b64 s[56:57], exec, s[56:57]
	s_cbranch_execz .LBB2_808
; %bb.794:                              ;   in Loop: Header=BB2_767 Depth=1
	s_and_saveexec_b64 s[58:59], s[12:13]
	s_cbranch_execz .LBB2_807
; %bb.795:                              ;   in Loop: Header=BB2_767 Depth=1
	s_mov_b64 s[62:63], exec
	v_mbcnt_lo_u32_b32 v3, s62, 0
	v_mbcnt_hi_u32_b32 v3, s63, v3
	v_cmp_eq_u32_e32 vcc, 0, v3
	s_waitcnt vmcnt(0) lgkmcnt(0)
	buffer_wbinvl1_vol
	s_and_saveexec_b64 s[60:61], vcc
	s_cbranch_execz .LBB2_797
; %bb.796:                              ;   in Loop: Header=BB2_767 Depth=1
	s_bcnt1_i32_b64 s62, s[62:63]
	v_mov_b32_e32 v10, s62
	ds_add_u64 v0, v[10:11]
	s_trap 2
.LBB2_797:                              ;   in Loop: Header=BB2_767 Depth=1
	s_or_b64 exec, exec, s[60:61]
	s_trap 2
	ds_read_b64 v[17:18], v0
	s_waitcnt lgkmcnt(0)
	v_add_co_u32_e32 v26, vcc, v26, v52
	v_addc_co_u32_e32 v27, vcc, 0, v27, vcc
	v_cmp_lt_u64_e32 vcc, v[17:18], v[26:27]
	s_and_saveexec_b64 s[60:61], vcc
	s_cbranch_execz .LBB2_806
; %bb.798:                              ;   in Loop: Header=BB2_767 Depth=1
	s_mov_b32 s90, 0
	s_mov_b64 s[62:63], 0
                                        ; implicit-def: $sgpr72_sgpr73
                                        ; implicit-def: $sgpr74_sgpr75
	s_branch .LBB2_800
.LBB2_799:                              ;   in Loop: Header=BB2_800 Depth=2
	s_or_b64 exec, exec, s[78:79]
	s_and_b64 s[76:77], exec, s[88:89]
	s_or_b64 s[62:63], s[76:77], s[62:63]
	s_andn2_b64 s[72:73], s[72:73], exec
	s_and_b64 s[76:77], s[74:75], exec
	s_or_b64 s[72:73], s[72:73], s[76:77]
	s_andn2_b64 exec, exec, s[62:63]
	s_cbranch_execz .LBB2_804
.LBB2_800:                              ;   Parent Loop BB2_767 Depth=1
                                        ; =>  This Inner Loop Header: Depth=2
	s_add_i32 s90, s90, 1
	s_cmpk_lg_i32 s90, 0x2710
	s_cselect_b64 s[76:77], -1, 0
	s_and_b64 vcc, exec, s[76:77]
	s_cbranch_vccz .LBB2_802
; %bb.801:                              ;   in Loop: Header=BB2_800 Depth=2
	s_mov_b64 s[88:89], -1
	s_or_b64 s[74:75], s[74:75], exec
	s_and_saveexec_b64 s[78:79], s[76:77]
	s_cbranch_execz .LBB2_799
	s_branch .LBB2_803
.LBB2_802:                              ;   in Loop: Header=BB2_800 Depth=2
	s_trap 2
	ds_read_b64 v[17:18], v0
	s_andn2_b64 s[76:77], s[76:77], exec
	s_mov_b32 s90, 0
	s_waitcnt lgkmcnt(0)
	flat_load_dword v3, v[17:18] glc
	s_waitcnt vmcnt(0) lgkmcnt(0)
	buffer_wbinvl1_vol
	v_cmp_eq_u32_e32 vcc, 0, v3
	s_and_b64 s[78:79], vcc, exec
	s_or_b64 s[76:77], s[76:77], s[78:79]
	s_mov_b64 s[88:89], -1
	s_or_b64 s[74:75], s[74:75], exec
	s_and_saveexec_b64 s[78:79], s[76:77]
	s_cbranch_execz .LBB2_799
.LBB2_803:                              ;   in Loop: Header=BB2_800 Depth=2
	s_sleep 1
	s_trap 2
	ds_read_b64 v[17:18], v0
	s_waitcnt lgkmcnt(0)
	s_andn2_b64 s[74:75], s[74:75], exec
	v_cmp_ge_u64_e32 vcc, v[17:18], v[26:27]
	s_orn2_b64 s[88:89], vcc, exec
	s_branch .LBB2_799
.LBB2_804:                              ;   in Loop: Header=BB2_767 Depth=1
	s_or_b64 exec, exec, s[62:63]
	s_and_saveexec_b64 s[62:63], s[72:73]
	s_xor_b64 s[62:63], exec, s[62:63]
	s_cbranch_execz .LBB2_806
; %bb.805:                              ;   in Loop: Header=BB2_767 Depth=1
	ds_write_b32 v0, v42
	s_trap 2
.LBB2_806:                              ;   in Loop: Header=BB2_767 Depth=1
	s_or_b64 exec, exec, s[60:61]
	;;#ASMSTART
	s_wakeup
	;;#ASMEND
.LBB2_807:                              ;   in Loop: Header=BB2_767 Depth=1
	s_or_b64 exec, exec, s[58:59]
.LBB2_808:                              ;   in Loop: Header=BB2_767 Depth=1
	s_andn2_saveexec_b64 s[56:57], s[56:57]
	s_cbranch_execz .LBB2_810
; %bb.809:                              ;   in Loop: Header=BB2_767 Depth=1
	s_waitcnt vmcnt(0) lgkmcnt(0)
	buffer_wbinvl1_vol
	s_barrier
.LBB2_810:                              ;   in Loop: Header=BB2_767 Depth=1
	s_or_b64 exec, exec, s[56:57]
.LBB2_811:                              ;   in Loop: Header=BB2_767 Depth=1
	s_or_b64 exec, exec, s[20:21]
	s_trap 2
	ds_read_b32 v3, v0
	v_and_b32_e32 v10, 0x4000, v44
	v_cmp_ne_u32_e32 vcc, 0, v10
	s_and_b64 s[56:57], s[42:43], vcc
	s_and_saveexec_b64 s[20:21], s[56:57]
	s_cbranch_execz .LBB2_830
; %bb.812:                              ;   in Loop: Header=BB2_767 Depth=1
	s_and_saveexec_b64 s[56:57], s[26:27]
	s_xor_b64 s[56:57], exec, s[56:57]
	s_cbranch_execz .LBB2_827
; %bb.813:                              ;   in Loop: Header=BB2_767 Depth=1
	s_and_saveexec_b64 s[58:59], s[12:13]
	s_cbranch_execz .LBB2_826
; %bb.814:                              ;   in Loop: Header=BB2_767 Depth=1
	s_mov_b64 s[62:63], exec
	v_mbcnt_lo_u32_b32 v10, s62, 0
	v_mbcnt_hi_u32_b32 v10, s63, v10
	v_cmp_eq_u32_e32 vcc, 0, v10
	s_waitcnt vmcnt(0) lgkmcnt(0)
	buffer_wbinvl1_vol
	s_and_saveexec_b64 s[60:61], vcc
	s_cbranch_execz .LBB2_816
; %bb.815:                              ;   in Loop: Header=BB2_767 Depth=1
	s_bcnt1_i32_b64 s62, s[62:63]
	v_mov_b32_e32 v10, s62
	ds_add_u64 v0, v[10:11]
	s_trap 2
.LBB2_816:                              ;   in Loop: Header=BB2_767 Depth=1
	s_or_b64 exec, exec, s[60:61]
	s_trap 2
	ds_read_b64 v[17:18], v0
	s_waitcnt lgkmcnt(0)
	v_add_co_u32_e32 v26, vcc, v26, v52
	v_addc_co_u32_e32 v27, vcc, 0, v27, vcc
	v_cmp_lt_u64_e32 vcc, v[17:18], v[26:27]
	s_and_saveexec_b64 s[60:61], vcc
	s_cbranch_execz .LBB2_825
; %bb.817:                              ;   in Loop: Header=BB2_767 Depth=1
	s_mov_b32 s90, 0
	s_mov_b64 s[62:63], 0
                                        ; implicit-def: $sgpr72_sgpr73
                                        ; implicit-def: $sgpr74_sgpr75
	s_branch .LBB2_819
.LBB2_818:                              ;   in Loop: Header=BB2_819 Depth=2
	s_or_b64 exec, exec, s[78:79]
	s_and_b64 s[76:77], exec, s[88:89]
	s_or_b64 s[62:63], s[76:77], s[62:63]
	s_andn2_b64 s[72:73], s[72:73], exec
	s_and_b64 s[76:77], s[74:75], exec
	s_or_b64 s[72:73], s[72:73], s[76:77]
	s_andn2_b64 exec, exec, s[62:63]
	s_cbranch_execz .LBB2_823
.LBB2_819:                              ;   Parent Loop BB2_767 Depth=1
                                        ; =>  This Inner Loop Header: Depth=2
	s_add_i32 s90, s90, 1
	s_cmpk_lg_i32 s90, 0x2710
	s_cselect_b64 s[76:77], -1, 0
	s_and_b64 vcc, exec, s[76:77]
	s_cbranch_vccz .LBB2_821
; %bb.820:                              ;   in Loop: Header=BB2_819 Depth=2
	s_mov_b64 s[88:89], -1
	s_or_b64 s[74:75], s[74:75], exec
	s_and_saveexec_b64 s[78:79], s[76:77]
	s_cbranch_execz .LBB2_818
	s_branch .LBB2_822
.LBB2_821:                              ;   in Loop: Header=BB2_819 Depth=2
	s_trap 2
	ds_read_b64 v[17:18], v0
	s_andn2_b64 s[76:77], s[76:77], exec
	s_mov_b32 s90, 0
	s_waitcnt lgkmcnt(0)
	flat_load_dword v10, v[17:18] glc
	s_waitcnt vmcnt(0) lgkmcnt(0)
	buffer_wbinvl1_vol
	v_cmp_eq_u32_e32 vcc, 0, v10
	s_and_b64 s[78:79], vcc, exec
	s_or_b64 s[76:77], s[76:77], s[78:79]
	s_mov_b64 s[88:89], -1
	s_or_b64 s[74:75], s[74:75], exec
	s_and_saveexec_b64 s[78:79], s[76:77]
	s_cbranch_execz .LBB2_818
.LBB2_822:                              ;   in Loop: Header=BB2_819 Depth=2
	s_sleep 1
	s_trap 2
	ds_read_b64 v[17:18], v0
	s_waitcnt lgkmcnt(0)
	s_andn2_b64 s[74:75], s[74:75], exec
	v_cmp_ge_u64_e32 vcc, v[17:18], v[26:27]
	s_orn2_b64 s[88:89], vcc, exec
	s_branch .LBB2_818
.LBB2_823:                              ;   in Loop: Header=BB2_767 Depth=1
	s_or_b64 exec, exec, s[62:63]
	s_and_saveexec_b64 s[62:63], s[72:73]
	s_xor_b64 s[62:63], exec, s[62:63]
	s_cbranch_execz .LBB2_825
; %bb.824:                              ;   in Loop: Header=BB2_767 Depth=1
	ds_write_b32 v0, v42
	s_trap 2
.LBB2_825:                              ;   in Loop: Header=BB2_767 Depth=1
	s_or_b64 exec, exec, s[60:61]
	;;#ASMSTART
	s_wakeup
	;;#ASMEND
.LBB2_826:                              ;   in Loop: Header=BB2_767 Depth=1
	s_or_b64 exec, exec, s[58:59]
.LBB2_827:                              ;   in Loop: Header=BB2_767 Depth=1
	s_andn2_saveexec_b64 s[56:57], s[56:57]
	s_cbranch_execz .LBB2_829
; %bb.828:                              ;   in Loop: Header=BB2_767 Depth=1
	s_waitcnt vmcnt(0) lgkmcnt(0)
	buffer_wbinvl1_vol
	s_barrier
.LBB2_829:                              ;   in Loop: Header=BB2_767 Depth=1
	s_or_b64 exec, exec, s[56:57]
.LBB2_830:                              ;   in Loop: Header=BB2_767 Depth=1
	s_or_b64 exec, exec, s[20:21]
	s_trap 2
	ds_read_b64 v[36:37], v0
	s_waitcnt lgkmcnt(0)
	v_cmp_eq_u64_e32 vcc, 0, v[36:37]
	s_cbranch_vccnz .LBB2_838
; %bb.831:                              ;   in Loop: Header=BB2_767 Depth=1
	s_trap 2
	ds_read_b64 v[38:39], v0
	s_waitcnt lgkmcnt(0)
	v_cmp_eq_u64_e32 vcc, 0, v[38:39]
	s_cbranch_vccnz .LBB2_838
; %bb.832:                              ;   in Loop: Header=BB2_767 Depth=1
	s_mov_b64 s[20:21], -1
	s_and_saveexec_b64 s[56:57], s[14:15]
	s_cbranch_execz .LBB2_834
; %bb.833:                              ;   in Loop: Header=BB2_767 Depth=1
	ds_read_b32 v10, v0 offset:720
	s_waitcnt lgkmcnt(0)
	v_and_b32_e32 v10, 15, v10
	v_cmp_eq_u32_e32 vcc, 0, v10
	s_orn2_b64 s[20:21], vcc, exec
.LBB2_834:                              ;   in Loop: Header=BB2_767 Depth=1
	s_or_b64 exec, exec, s[56:57]
	s_and_saveexec_b64 s[56:57], s[16:17]
	s_cbranch_execz .LBB2_836
; %bb.835:                              ;   in Loop: Header=BB2_767 Depth=1
	ds_read_b32 v10, v0 offset:784
	s_waitcnt lgkmcnt(0)
	v_and_b32_e32 v10, 15, v10
	v_cmp_eq_u32_e32 vcc, 0, v10
	s_and_b64 s[58:59], s[20:21], vcc
	s_andn2_b64 s[20:21], s[20:21], exec
	s_and_b64 s[58:59], s[58:59], exec
	s_or_b64 s[20:21], s[20:21], s[58:59]
.LBB2_836:                              ;   in Loop: Header=BB2_767 Depth=1
	s_or_b64 exec, exec, s[56:57]
	v_cmp_eq_u32_e32 vcc, 0, v3
	s_xor_b64 s[20:21], s[20:21], -1
	v_cndmask_b32_e32 v3, 0, v2, vcc
	v_cndmask_b32_e64 v17, 0, 1, s[20:21]
	v_lshlrev_b32_e32 v10, 1, v3
	s_mov_b64 s[58:59], -1
	v_cmp_ne_u32_e32 vcc, 0, v17
	v_mov_b32_e32 v17, 0
	s_cbranch_vccz .LBB2_839
; %bb.837:                              ;   in Loop: Header=BB2_767 Depth=1
	v_mov_b32_e32 v30, v35
	s_and_saveexec_b64 s[20:21], s[58:59]
	s_cbranch_execnz .LBB2_850
	s_branch .LBB2_858
.LBB2_838:                              ;   in Loop: Header=BB2_767 Depth=1
	s_mov_b64 s[20:21], 0
	s_and_saveexec_b64 s[56:57], s[10:11]
	s_cbranch_execnz .LBB2_859
	s_branch .LBB2_877
.LBB2_839:                              ;   in Loop: Header=BB2_767 Depth=1
	v_lshrrev_b32_e32 v17, 10, v3
	v_sub_u32_e32 v50, v17, v54
	v_cmp_lt_i32_e32 vcc, 0, v50
	s_and_saveexec_b64 s[20:21], vcc
	s_cbranch_execz .LBB2_843
; %bb.840:                              ;   in Loop: Header=BB2_767 Depth=1
	v_mov_b32_e32 v49, v13
	v_mov_b32_e32 v43, v59
	;; [unrolled: 1-line block ×3, first 2 shown]
	s_mov_b64 s[56:57], 0
	v_mov_b32_e32 v48, v12
.LBB2_841:                              ;   Parent Loop BB2_767 Depth=1
                                        ; =>  This Inner Loop Header: Depth=2
	v_add_co_u32_e32 v18, vcc, v36, v48
	v_addc_co_u32_e32 v19, vcc, v37, v49, vcc
	global_load_dwordx4 v[56:59], v[18:19], off glc slc
	s_nop 0
	global_load_dwordx4 v[18:21], v[18:19], off offset:1024 glc slc
	v_add_co_u32_e32 v30, vcc, v38, v48
	v_addc_co_u32_e32 v31, vcc, v39, v49, vcc
	v_lshlrev_b32_e32 v34, 11, v52
	v_add_co_u32_e32 v48, vcc, v48, v34
	v_sub_u32_e32 v50, v50, v52
	v_addc_co_u32_e32 v49, vcc, 0, v49, vcc
	v_cmp_gt_i32_e32 vcc, 1, v50
	s_or_b64 s[56:57], vcc, s[56:57]
	s_waitcnt vmcnt(0)
	global_store_dwordx4 v[30:31], v[56:59], off glc slc
	global_store_dwordx4 v[30:31], v[18:21], off offset:1024 glc slc
	s_andn2_b64 exec, exec, s[56:57]
	s_cbranch_execnz .LBB2_841
; %bb.842:                              ;   in Loop: Header=BB2_767 Depth=1
	s_or_b64 exec, exec, s[56:57]
	v_mov_b32_e32 v31, v51
	v_mov_b32_e32 v59, v43
.LBB2_843:                              ;   in Loop: Header=BB2_767 Depth=1
	s_or_b64 exec, exec, s[20:21]
	v_lshlrev_b32_e32 v34, 11, v17
	v_cmp_ne_u32_e32 vcc, v10, v34
	s_mov_b64 s[58:59], 0
	v_mov_b32_e32 v17, 0
                                        ; implicit-def: $vgpr30
	s_and_saveexec_b64 s[56:57], vcc
	s_cbranch_execz .LBB2_849
; %bb.844:                              ;   in Loop: Header=BB2_767 Depth=1
	v_lshlrev_b32_e32 v17, 6, v50
	v_sub_u32_e32 v17, v53, v17
	v_ashrrev_i32_e32 v19, 31, v17
	v_lshrrev_b32_e32 v19, 26, v19
	v_add_u32_e32 v19, v17, v19
	v_ashrrev_i32_e32 v20, 6, v19
	v_and_b32_e32 v19, 0xffffffc0, v19
	v_sub_u32_e32 v30, v17, v19
	v_sub_u32_e32 v18, v10, v34
	v_lshlrev_b32_e32 v17, 4, v30
	v_lshl_add_u32 v51, v20, 10, v17
	v_ashrrev_i32_e32 v17, 31, v18
	v_lshrrev_b32_e32 v17, 22, v17
	v_add_u32_e32 v17, v18, v17
	v_ashrrev_i32_e32 v19, 10, v17
	v_and_b32_e32 v17, 0xfffffc00, v17
	v_sub_u32_e32 v48, v18, v17
	v_cmp_lt_i32_e32 vcc, 15, v48
	v_sub_u32_e32 v50, v18, v51
	v_addc_co_u32_e64 v18, s[20:21], 0, v19, vcc
	v_sub_u32_e32 v49, v18, v20
	v_cmp_lt_i32_e64 s[20:21], 15, v50
	s_and_saveexec_b64 s[58:59], s[20:21]
	s_cbranch_execz .LBB2_848
; %bb.845:                              ;   in Loop: Header=BB2_767 Depth=1
	v_add_u32_e32 v51, v51, v34
	v_ashrrev_i32_e32 v43, 31, v51
	s_mov_b64 s[60:61], 0
.LBB2_846:                              ;   Parent Loop BB2_767 Depth=1
                                        ; =>  This Inner Loop Header: Depth=2
	v_add_co_u32_e64 v18, s[20:21], v36, v51
	v_addc_co_u32_e64 v19, s[20:21], v37, v43, s[20:21]
	global_load_dwordx4 v[18:21], v[18:19], off glc slc
	v_add_co_u32_e64 v46, s[20:21], v38, v51
	v_addc_co_u32_e64 v47, s[20:21], v39, v43, s[20:21]
	v_add_co_u32_e64 v51, s[20:21], v51, v55
	v_sub_u32_e32 v50, v50, v55
	v_addc_co_u32_e64 v43, s[20:21], 0, v43, s[20:21]
	v_cmp_gt_i32_e64 s[20:21], 16, v50
	v_sub_u32_e32 v49, v49, v52
	s_or_b64 s[60:61], s[20:21], s[60:61]
	s_waitcnt vmcnt(0)
	global_store_dwordx4 v[46:47], v[18:21], off glc slc
	s_andn2_b64 exec, exec, s[60:61]
	s_cbranch_execnz .LBB2_846
; %bb.847:                              ;   in Loop: Header=BB2_767 Depth=1
	s_or_b64 exec, exec, s[60:61]
.LBB2_848:                              ;   in Loop: Header=BB2_767 Depth=1
	s_or_b64 exec, exec, s[58:59]
	v_and_b32_e32 v10, 14, v10
	v_sub_u32_e32 v18, v48, v10
	v_cndmask_b32_e32 v18, 0, v18, vcc
	v_cndmask_b32_e32 v10, v48, v10, vcc
	v_cmp_lt_i32_e32 vcc, 0, v49
	v_add3_u32 v17, v17, v34, v18
	v_cndmask_b32_e32 v18, 0, v52, vcc
	v_sub_u32_e32 v18, v18, v49
	v_cmp_ne_u32_e32 vcc, 0, v10
	v_lshl_add_u32 v30, v18, 6, v30
	s_and_b64 s[58:59], vcc, exec
.LBB2_849:                              ;   in Loop: Header=BB2_767 Depth=1
	s_or_b64 exec, exec, s[56:57]
	s_and_saveexec_b64 s[20:21], s[58:59]
	s_cbranch_execz .LBB2_858
.LBB2_850:                              ;   in Loop: Header=BB2_767 Depth=1
	v_ashrrev_i32_e32 v18, 31, v30
	v_lshrrev_b32_e32 v18, 26, v18
	v_add_u32_e32 v48, v30, v18
	v_ashrrev_i32_e32 v18, 31, v10
	v_lshrrev_b32_e32 v18, 23, v18
	v_add_u32_e32 v18, v10, v18
	v_ashrrev_i32_e32 v58, 6, v48
	v_ashrrev_i32_e32 v46, 9, v18
	v_sub_u32_e32 v43, v46, v58
	v_cmp_lt_i32_e32 vcc, 0, v43
	s_and_saveexec_b64 s[56:57], vcc
	s_cbranch_execz .LBB2_854
; %bb.851:                              ;   in Loop: Header=BB2_767 Depth=1
	v_and_b32_e32 v18, 0x7fffffc0, v48
	v_sub_u32_e32 v18, v30, v18
	v_lshlrev_b32_e32 v18, 1, v18
	v_lshlrev_b32_e32 v19, 9, v58
	v_add3_u32 v47, v18, v17, v19
	v_mov_b32_e32 v49, v39
	v_mov_b32_e32 v51, v37
	v_ashrrev_i32_e32 v56, 31, v47
	s_mov_b64 s[58:59], 0
	v_mov_b32_e32 v48, v38
	v_mov_b32_e32 v50, v36
.LBB2_852:                              ;   Parent Loop BB2_767 Depth=1
                                        ; =>  This Inner Loop Header: Depth=2
	v_add_co_u32_e32 v18, vcc, v47, v50
	v_addc_co_u32_e32 v19, vcc, v56, v51, vcc
	flat_load_ushort v20, v[18:19] glc slc
	flat_load_ushort v21, v[18:19] offset:128 glc slc
	flat_load_ushort v34, v[18:19] offset:256 glc slc
	;; [unrolled: 1-line block ×3, first 2 shown]
	v_add_co_u32_e32 v18, vcc, v47, v48
	v_addc_co_u32_e32 v19, vcc, v56, v49, vcc
	v_add_co_u32_e32 v50, vcc, v50, v40
	v_addc_co_u32_e32 v51, vcc, 0, v51, vcc
	v_add_co_u32_e32 v48, vcc, v48, v40
	v_sub_u32_e32 v43, v43, v52
	v_addc_co_u32_e32 v49, vcc, 0, v49, vcc
	v_cmp_gt_i32_e32 vcc, 1, v43
	s_or_b64 s[58:59], vcc, s[58:59]
	s_waitcnt vmcnt(0) lgkmcnt(0)
	flat_store_short v[18:19], v20 glc slc
	flat_store_short v[18:19], v21 offset:128 glc slc
	flat_store_short v[18:19], v34 offset:256 glc slc
	;; [unrolled: 1-line block ×3, first 2 shown]
	s_andn2_b64 exec, exec, s[58:59]
	s_cbranch_execnz .LBB2_852
; %bb.853:                              ;   in Loop: Header=BB2_767 Depth=1
	s_or_b64 exec, exec, s[58:59]
.LBB2_854:                              ;   in Loop: Header=BB2_767 Depth=1
	s_or_b64 exec, exec, s[56:57]
	v_lshlrev_b32_e32 v48, 9, v46
	v_cmp_ne_u32_e32 vcc, v10, v48
	s_and_b64 exec, exec, vcc
	s_cbranch_execz .LBB2_858
; %bb.855:                              ;   in Loop: Header=BB2_767 Depth=1
	v_lshlrev_b32_e32 v18, 6, v58
	v_sub_u32_e32 v18, v30, v18
	v_lshlrev_b32_e32 v19, 6, v43
	v_sub_u32_e32 v18, v18, v19
	v_ashrrev_i32_e32 v19, 31, v18
	v_lshrrev_b32_e32 v19, 26, v19
	v_add_u32_e32 v19, v18, v19
	v_and_b32_e32 v20, 0x7fffffc0, v19
	v_sub_u32_e32 v18, v18, v20
	v_lshlrev_b32_e32 v19, 1, v19
	v_and_b32_e32 v19, 0xffffff80, v19
	v_lshlrev_b32_e32 v18, 1, v18
	v_add3_u32 v30, v19, v18, v48
	v_sub_u32_e32 v10, v10, v30
	v_cmp_lt_i32_e32 vcc, 1, v10
	s_and_b64 exec, exec, vcc
	s_cbranch_execz .LBB2_858
; %bb.856:                              ;   in Loop: Header=BB2_767 Depth=1
	v_add_u32_e32 v17, v30, v17
	v_ashrrev_i32_e32 v30, 31, v17
	s_mov_b64 s[56:57], 0
.LBB2_857:                              ;   Parent Loop BB2_767 Depth=1
                                        ; =>  This Inner Loop Header: Depth=2
	v_add_co_u32_e32 v18, vcc, v36, v17
	v_addc_co_u32_e32 v19, vcc, v37, v30, vcc
	flat_load_ushort v20, v[18:19] glc slc
	v_add_co_u32_e32 v18, vcc, v38, v17
	v_addc_co_u32_e32 v19, vcc, v39, v30, vcc
	v_add_co_u32_e32 v17, vcc, v17, v41
	v_sub_u32_e32 v10, v10, v41
	v_addc_co_u32_e32 v30, vcc, 0, v30, vcc
	v_cmp_gt_i32_e32 vcc, 2, v10
	s_or_b64 s[56:57], vcc, s[56:57]
	s_waitcnt vmcnt(0) lgkmcnt(0)
	flat_store_short v[18:19], v20 glc slc
	s_andn2_b64 exec, exec, s[56:57]
	s_cbranch_execnz .LBB2_857
.LBB2_858:                              ;   in Loop: Header=BB2_767 Depth=1
	s_or_b64 exec, exec, s[20:21]
	v_cmp_ne_u32_e64 s[20:21], 0, v3
	s_and_saveexec_b64 s[56:57], s[10:11]
	s_cbranch_execz .LBB2_877
.LBB2_859:                              ;   in Loop: Header=BB2_767 Depth=1
	s_and_saveexec_b64 s[58:59], s[26:27]
	s_xor_b64 s[58:59], exec, s[58:59]
	s_cbranch_execz .LBB2_874
; %bb.860:                              ;   in Loop: Header=BB2_767 Depth=1
	s_and_saveexec_b64 s[60:61], s[12:13]
	s_cbranch_execz .LBB2_873
; %bb.861:                              ;   in Loop: Header=BB2_767 Depth=1
	s_mov_b64 s[72:73], exec
	v_mbcnt_lo_u32_b32 v3, s72, 0
	v_mbcnt_hi_u32_b32 v3, s73, v3
	v_cmp_eq_u32_e32 vcc, 0, v3
	s_waitcnt vmcnt(0) lgkmcnt(0)
	buffer_wbinvl1_vol
	s_and_saveexec_b64 s[62:63], vcc
	s_cbranch_execz .LBB2_863
; %bb.862:                              ;   in Loop: Header=BB2_767 Depth=1
	s_bcnt1_i32_b64 s72, s[72:73]
	v_mov_b32_e32 v10, s72
	ds_add_u64 v0, v[10:11]
	s_trap 2
.LBB2_863:                              ;   in Loop: Header=BB2_767 Depth=1
	s_or_b64 exec, exec, s[62:63]
	s_trap 2
	ds_read_b64 v[17:18], v0
	s_waitcnt lgkmcnt(0)
	v_add_co_u32_e32 v26, vcc, v26, v52
	v_addc_co_u32_e32 v27, vcc, 0, v27, vcc
	v_cmp_lt_u64_e32 vcc, v[17:18], v[26:27]
	s_and_saveexec_b64 s[62:63], vcc
	s_cbranch_execz .LBB2_872
; %bb.864:                              ;   in Loop: Header=BB2_767 Depth=1
	s_mov_b32 s92, 0
	s_mov_b64 s[72:73], 0
                                        ; implicit-def: $sgpr74_sgpr75
                                        ; implicit-def: $sgpr76_sgpr77
	s_branch .LBB2_866
.LBB2_865:                              ;   in Loop: Header=BB2_866 Depth=2
	s_or_b64 exec, exec, s[88:89]
	s_and_b64 s[78:79], exec, s[90:91]
	s_or_b64 s[72:73], s[78:79], s[72:73]
	s_andn2_b64 s[74:75], s[74:75], exec
	s_and_b64 s[78:79], s[76:77], exec
	s_or_b64 s[74:75], s[74:75], s[78:79]
	s_andn2_b64 exec, exec, s[72:73]
	s_cbranch_execz .LBB2_870
.LBB2_866:                              ;   Parent Loop BB2_767 Depth=1
                                        ; =>  This Inner Loop Header: Depth=2
	s_add_i32 s92, s92, 1
	s_cmpk_lg_i32 s92, 0x2710
	s_cselect_b64 s[78:79], -1, 0
	s_and_b64 vcc, exec, s[78:79]
	s_cbranch_vccz .LBB2_868
; %bb.867:                              ;   in Loop: Header=BB2_866 Depth=2
	s_mov_b64 s[90:91], -1
	s_or_b64 s[76:77], s[76:77], exec
	s_and_saveexec_b64 s[88:89], s[78:79]
	s_cbranch_execz .LBB2_865
	s_branch .LBB2_869
.LBB2_868:                              ;   in Loop: Header=BB2_866 Depth=2
	s_trap 2
	ds_read_b64 v[17:18], v0
	s_andn2_b64 s[78:79], s[78:79], exec
	s_mov_b32 s92, 0
	s_waitcnt lgkmcnt(0)
	flat_load_dword v3, v[17:18] glc
	s_waitcnt vmcnt(0) lgkmcnt(0)
	buffer_wbinvl1_vol
	v_cmp_eq_u32_e32 vcc, 0, v3
	s_and_b64 s[88:89], vcc, exec
	s_or_b64 s[78:79], s[78:79], s[88:89]
	s_mov_b64 s[90:91], -1
	s_or_b64 s[76:77], s[76:77], exec
	s_and_saveexec_b64 s[88:89], s[78:79]
	s_cbranch_execz .LBB2_865
.LBB2_869:                              ;   in Loop: Header=BB2_866 Depth=2
	s_sleep 1
	s_trap 2
	ds_read_b64 v[17:18], v0
	s_waitcnt lgkmcnt(0)
	s_andn2_b64 s[76:77], s[76:77], exec
	v_cmp_ge_u64_e32 vcc, v[17:18], v[26:27]
	s_orn2_b64 s[90:91], vcc, exec
	s_branch .LBB2_865
.LBB2_870:                              ;   in Loop: Header=BB2_767 Depth=1
	s_or_b64 exec, exec, s[72:73]
	s_and_saveexec_b64 s[72:73], s[74:75]
	s_xor_b64 s[72:73], exec, s[72:73]
	s_cbranch_execz .LBB2_872
; %bb.871:                              ;   in Loop: Header=BB2_767 Depth=1
	ds_write_b32 v0, v42
	s_trap 2
.LBB2_872:                              ;   in Loop: Header=BB2_767 Depth=1
	s_or_b64 exec, exec, s[62:63]
	;;#ASMSTART
	s_wakeup
	;;#ASMEND
.LBB2_873:                              ;   in Loop: Header=BB2_767 Depth=1
	s_or_b64 exec, exec, s[60:61]
.LBB2_874:                              ;   in Loop: Header=BB2_767 Depth=1
	s_andn2_saveexec_b64 s[58:59], s[58:59]
	s_cbranch_execz .LBB2_876
; %bb.875:                              ;   in Loop: Header=BB2_767 Depth=1
	s_waitcnt vmcnt(0) lgkmcnt(0)
	buffer_wbinvl1_vol
	s_barrier
.LBB2_876:                              ;   in Loop: Header=BB2_767 Depth=1
	s_or_b64 exec, exec, s[58:59]
.LBB2_877:                              ;   in Loop: Header=BB2_767 Depth=1
	s_or_b64 exec, exec, s[56:57]
	v_and_b32_e32 v3, 16, v44
	v_cmp_ne_u32_e32 vcc, 0, v3
	s_and_b64 s[56:57], vcc, s[20:21]
	s_and_saveexec_b64 s[20:21], s[56:57]
	s_cbranch_execz .LBB2_879
; %bb.878:                              ;   in Loop: Header=BB2_767 Depth=1
	s_waitcnt vmcnt(0) lgkmcnt(0)
	buffer_wbinvl1_vol
.LBB2_879:                              ;   in Loop: Header=BB2_767 Depth=1
	s_or_b64 exec, exec, s[20:21]
	v_cmp_ne_u32_e32 vcc, 0, v3
	s_and_saveexec_b64 s[20:21], vcc
	s_cbranch_execz .LBB2_883
; %bb.880:                              ;   in Loop: Header=BB2_767 Depth=1
	s_and_saveexec_b64 s[56:57], s[18:19]
	s_cbranch_execz .LBB2_882
; %bb.881:                              ;   in Loop: Header=BB2_767 Depth=1
	buffer_load_dword v17, off, s[0:3], s33 offset:60 ; 4-byte Folded Reload
	buffer_load_dword v18, off, s[0:3], s33 offset:64 ; 4-byte Folded Reload
	s_waitcnt vmcnt(0)
	flat_store_dword v[17:18], v42
.LBB2_882:                              ;   in Loop: Header=BB2_767 Depth=1
	s_or_b64 exec, exec, s[56:57]
	v_add_co_u32_e32 v8, vcc, 1, v8
	v_addc_co_u32_e32 v9, vcc, 0, v9, vcc
	flat_store_dwordx2 v[22:23], v[8:9]
.LBB2_883:                              ;   in Loop: Header=BB2_767 Depth=1
	s_or_b64 exec, exec, s[20:21]
	v_mov_b32_e32 v3, v2
.LBB2_884:                              ;   in Loop: Header=BB2_767 Depth=1
	s_or_b64 exec, exec, s[46:47]
	s_and_saveexec_b64 s[46:47], s[44:45]
	s_cbranch_execz .LBB2_766
; %bb.885:                              ;   in Loop: Header=BB2_767 Depth=1
	v_sub_u32_e32 v3, v16, v3
	v_min_i32_e32 v16, v2, v3
	v_and_b32_e32 v2, 8, v44
	v_cmp_ne_u32_e32 vcc, 0, v2
	s_and_saveexec_b64 s[44:45], vcc
	s_cbranch_execz .LBB2_907
; %bb.886:                              ;   in Loop: Header=BB2_767 Depth=1
	s_waitcnt vmcnt(0)
	v_add_co_u32_e32 v2, vcc, 8, v28
	v_addc_co_u32_e32 v3, vcc, 0, v29, vcc
	s_waitcnt lgkmcnt(0)
	v_add_co_u32_e32 v36, vcc, 1, v8
	v_addc_co_u32_e32 v37, vcc, 0, v9, vcc
	v_cmp_lt_u64_e32 vcc, v[2:3], v[36:37]
	s_and_saveexec_b64 s[56:57], vcc
	s_cbranch_execz .LBB2_898
; %bb.887:                              ;   in Loop: Header=BB2_767 Depth=1
	v_and_b32_e32 v2, 64, v44
	s_mov_b32 s92, 0
	v_cmp_eq_u32_e32 vcc, 0, v2
	s_mov_b64 s[58:59], 0
                                        ; implicit-def: $sgpr60_sgpr61
                                        ; implicit-def: $sgpr62_sgpr63
                                        ; implicit-def: $sgpr72_sgpr73
	s_branch .LBB2_891
.LBB2_888:                              ;   in Loop: Header=BB2_891 Depth=2
	s_waitcnt vmcnt(0) lgkmcnt(0)
	v_add_co_u32_e64 v9, s[20:21], 8, v28
	v_addc_co_u32_e64 v10, s[20:21], 0, v29, s[20:21]
	v_cmp_ge_u64_e64 s[20:21], v[9:10], v[36:37]
	s_or_b64 s[78:79], s[78:79], exec
	s_orn2_b64 s[76:77], s[20:21], exec
.LBB2_889:                              ;   in Loop: Header=BB2_891 Depth=2
	s_or_b64 exec, exec, s[90:91]
	s_andn2_b64 s[20:21], s[72:73], exec
	s_and_b64 s[72:73], s[78:79], exec
	s_or_b64 s[72:73], s[20:21], s[72:73]
	s_andn2_b64 s[20:21], s[62:63], exec
	s_and_b64 s[62:63], s[76:77], exec
	s_or_b64 s[62:63], s[20:21], s[62:63]
.LBB2_890:                              ;   in Loop: Header=BB2_891 Depth=2
	s_or_b64 exec, exec, s[74:75]
	s_and_b64 s[20:21], exec, s[62:63]
	s_or_b64 s[58:59], s[20:21], s[58:59]
	s_andn2_b64 s[20:21], s[60:61], exec
	s_and_b64 s[60:61], s[72:73], exec
	s_or_b64 s[60:61], s[20:21], s[60:61]
	s_andn2_b64 exec, exec, s[58:59]
	s_cbranch_execz .LBB2_895
.LBB2_891:                              ;   Parent Loop BB2_767 Depth=1
                                        ; =>  This Inner Loop Header: Depth=2
	s_sleep 1
	s_waitcnt vmcnt(0) lgkmcnt(0)
	flat_load_dwordx2 v[28:29], v[22:23] glc
	s_or_b64 s[72:73], s[72:73], exec
	s_or_b64 s[62:63], s[62:63], exec
                                        ; implicit-def: $vgpr2
	s_and_saveexec_b64 s[74:75], vcc
	s_cbranch_execz .LBB2_890
; %bb.892:                              ;   in Loop: Header=BB2_891 Depth=2
	s_cmpk_lt_i32 s92, 0x270f
	s_cselect_b64 s[88:89], -1, 0
	s_cmpk_gt_i32 s92, 0x270e
	s_mov_b64 s[76:77], -1
	s_cbranch_scc0 .LBB2_894
; %bb.893:                              ;   in Loop: Header=BB2_891 Depth=2
	s_trap 2
	ds_read_b64 v[2:3], v0
	s_andn2_b64 s[88:89], s[88:89], exec
	s_mov_b32 s92, 0
	s_mov_b64 s[78:79], 0
	s_waitcnt vmcnt(0) lgkmcnt(0)
	flat_load_dword v2, v[2:3] glc
	s_waitcnt vmcnt(0) lgkmcnt(0)
	buffer_wbinvl1_vol
	v_cmp_eq_u32_e64 s[20:21], 0, v2
	s_and_b64 s[20:21], s[20:21], exec
	s_or_b64 s[88:89], s[88:89], s[20:21]
	s_and_saveexec_b64 s[90:91], s[88:89]
	s_cbranch_execz .LBB2_889
	s_branch .LBB2_888
.LBB2_894:                              ;   in Loop: Header=BB2_891 Depth=2
	s_add_i32 s92, s92, 1
	s_mov_b64 s[78:79], -1
                                        ; implicit-def: $vgpr2
	s_and_saveexec_b64 s[90:91], s[88:89]
	s_cbranch_execz .LBB2_889
	s_branch .LBB2_888
.LBB2_895:                              ;   in Loop: Header=BB2_767 Depth=1
	s_or_b64 exec, exec, s[58:59]
	s_xor_b64 s[20:21], s[60:61], -1
	s_and_saveexec_b64 s[58:59], s[20:21]
	s_xor_b64 s[20:21], exec, s[58:59]
	s_cbranch_execz .LBB2_897
; %bb.896:                              ;   in Loop: Header=BB2_767 Depth=1
	v_or_b32_e32 v44, 64, v44
	s_waitcnt lgkmcnt(0)
	ds_write_b32 v0, v2
	s_trap 2
.LBB2_897:                              ;   in Loop: Header=BB2_767 Depth=1
	s_or_b64 exec, exec, s[20:21]
.LBB2_898:                              ;   in Loop: Header=BB2_767 Depth=1
	s_or_b64 exec, exec, s[56:57]
	v_and_b32_e32 v2, 0x100, v44
	v_cmp_ne_u32_e32 vcc, 0, v2
	v_and_b32_e32 v2, 7, v8
	s_mov_b64 s[20:21], -1
	;;#ASMSTART
	s_wakeup
	;;#ASMEND
                                        ; implicit-def: $vgpr8_vgpr9
	s_and_saveexec_b64 s[56:57], vcc
	s_cbranch_execz .LBB2_902
; %bb.899:                              ;   in Loop: Header=BB2_767 Depth=1
	v_mad_u64_u32 v[38:39], s[20:21], v2, 24, v[6:7]
	v_ashrrev_i32_e32 v17, 31, v16
	v_lshlrev_b64 v[8:9], 1, v[16:17]
	flat_load_dword v3, v[38:39]
	s_waitcnt vmcnt(0) lgkmcnt(0)
	v_cmp_ne_u32_e32 vcc, 1, v3
	v_cmp_eq_u32_e64 s[20:21], 1, v3
	flat_store_dwordx2 v[38:39], v[8:9] offset:8
                                        ; implicit-def: $vgpr8_vgpr9
	s_and_saveexec_b64 s[58:59], s[20:21]
	s_cbranch_execz .LBB2_901
; %bb.900:                              ;   in Loop: Header=BB2_767 Depth=1
	flat_load_dword v8, v[38:39] offset:4 glc
	s_waitcnt vmcnt(0) lgkmcnt(0)
	v_ashrrev_i32_e32 v9, 31, v8
	v_lshrrev_b64 v[8:9], 1, v[8:9]
.LBB2_901:                              ;   in Loop: Header=BB2_767 Depth=1
	s_or_b64 exec, exec, s[58:59]
	s_orn2_b64 s[20:21], vcc, exec
.LBB2_902:                              ;   in Loop: Header=BB2_767 Depth=1
	s_or_b64 exec, exec, s[56:57]
	s_and_saveexec_b64 s[56:57], s[20:21]
; %bb.903:                              ;   in Loop: Header=BB2_767 Depth=1
	v_mad_i64_i32 v[8:9], s[20:21], v2, v62, 0
; %bb.904:                              ;   in Loop: Header=BB2_767 Depth=1
	s_or_b64 exec, exec, s[56:57]
	v_lshlrev_b64 v[2:3], 1, v[8:9]
	v_add_co_u32_e32 v2, vcc, v24, v2
	v_addc_co_u32_e32 v3, vcc, v25, v3, vcc
	ds_write_b64 v0, v[2:3] offset:784
	v_and_b32_e32 v2, 0x2000, v44
	v_cmp_ne_u32_e32 vcc, 0, v2
	s_and_saveexec_b64 s[20:21], vcc
	s_cbranch_execz .LBB2_906
; %bb.905:                              ;   in Loop: Header=BB2_767 Depth=1
	ds_read_b64 v[2:3], v0 offset:872
	s_waitcnt lgkmcnt(0)
	v_add_co_u32_e32 v2, vcc, 1, v2
	v_addc_co_u32_e32 v3, vcc, 0, v3, vcc
	ds_write_b64 v0, v[2:3] offset:872
.LBB2_906:                              ;   in Loop: Header=BB2_767 Depth=1
	s_or_b64 exec, exec, s[20:21]
	v_mov_b32_e32 v8, v36
	v_mov_b32_e32 v9, v37
.LBB2_907:                              ;   in Loop: Header=BB2_767 Depth=1
	s_or_b64 exec, exec, s[44:45]
	s_and_saveexec_b64 s[20:21], s[10:11]
	s_cbranch_execz .LBB2_926
; %bb.908:                              ;   in Loop: Header=BB2_767 Depth=1
	s_and_saveexec_b64 s[44:45], s[26:27]
	s_xor_b64 s[44:45], exec, s[44:45]
	s_cbranch_execz .LBB2_923
; %bb.909:                              ;   in Loop: Header=BB2_767 Depth=1
	s_and_saveexec_b64 s[56:57], s[12:13]
	s_cbranch_execz .LBB2_922
; %bb.910:                              ;   in Loop: Header=BB2_767 Depth=1
	s_mov_b64 s[60:61], exec
	v_mbcnt_lo_u32_b32 v2, s60, 0
	v_mbcnt_hi_u32_b32 v2, s61, v2
	v_cmp_eq_u32_e32 vcc, 0, v2
	s_waitcnt vmcnt(0) lgkmcnt(0)
	buffer_wbinvl1_vol
	s_and_saveexec_b64 s[58:59], vcc
	s_cbranch_execz .LBB2_912
; %bb.911:                              ;   in Loop: Header=BB2_767 Depth=1
	s_bcnt1_i32_b64 s60, s[60:61]
	v_mov_b32_e32 v10, s60
	ds_add_u64 v0, v[10:11]
	s_trap 2
.LBB2_912:                              ;   in Loop: Header=BB2_767 Depth=1
	s_or_b64 exec, exec, s[58:59]
	s_trap 2
	ds_read_b64 v[2:3], v0
	s_waitcnt lgkmcnt(0)
	v_add_co_u32_e32 v26, vcc, v26, v52
	v_addc_co_u32_e32 v27, vcc, 0, v27, vcc
	v_cmp_lt_u64_e32 vcc, v[2:3], v[26:27]
	s_and_saveexec_b64 s[58:59], vcc
	s_cbranch_execz .LBB2_921
; %bb.913:                              ;   in Loop: Header=BB2_767 Depth=1
	s_mov_b32 s88, 0
	s_mov_b64 s[60:61], 0
                                        ; implicit-def: $sgpr62_sgpr63
                                        ; implicit-def: $sgpr72_sgpr73
	s_branch .LBB2_915
.LBB2_914:                              ;   in Loop: Header=BB2_915 Depth=2
	s_or_b64 exec, exec, s[76:77]
	s_and_b64 s[74:75], exec, s[78:79]
	s_or_b64 s[60:61], s[74:75], s[60:61]
	s_andn2_b64 s[62:63], s[62:63], exec
	s_and_b64 s[74:75], s[72:73], exec
	s_or_b64 s[62:63], s[62:63], s[74:75]
	s_andn2_b64 exec, exec, s[60:61]
	s_cbranch_execz .LBB2_919
.LBB2_915:                              ;   Parent Loop BB2_767 Depth=1
                                        ; =>  This Inner Loop Header: Depth=2
	s_add_i32 s88, s88, 1
	s_cmpk_lg_i32 s88, 0x2710
	s_cselect_b64 s[74:75], -1, 0
	s_and_b64 vcc, exec, s[74:75]
	s_cbranch_vccz .LBB2_917
; %bb.916:                              ;   in Loop: Header=BB2_915 Depth=2
	s_mov_b64 s[78:79], -1
	s_or_b64 s[72:73], s[72:73], exec
	s_and_saveexec_b64 s[76:77], s[74:75]
	s_cbranch_execz .LBB2_914
	s_branch .LBB2_918
.LBB2_917:                              ;   in Loop: Header=BB2_915 Depth=2
	s_trap 2
	ds_read_b64 v[2:3], v0
	s_andn2_b64 s[74:75], s[74:75], exec
	s_mov_b32 s88, 0
	s_waitcnt lgkmcnt(0)
	flat_load_dword v2, v[2:3] glc
	s_waitcnt vmcnt(0) lgkmcnt(0)
	buffer_wbinvl1_vol
	v_cmp_eq_u32_e32 vcc, 0, v2
	s_and_b64 s[76:77], vcc, exec
	s_or_b64 s[74:75], s[74:75], s[76:77]
	s_mov_b64 s[78:79], -1
	s_or_b64 s[72:73], s[72:73], exec
	s_and_saveexec_b64 s[76:77], s[74:75]
	s_cbranch_execz .LBB2_914
.LBB2_918:                              ;   in Loop: Header=BB2_915 Depth=2
	s_sleep 1
	s_trap 2
	ds_read_b64 v[2:3], v0
	s_waitcnt lgkmcnt(0)
	s_andn2_b64 s[72:73], s[72:73], exec
	v_cmp_ge_u64_e32 vcc, v[2:3], v[26:27]
	s_orn2_b64 s[78:79], vcc, exec
	s_branch .LBB2_914
.LBB2_919:                              ;   in Loop: Header=BB2_767 Depth=1
	s_or_b64 exec, exec, s[60:61]
	s_and_saveexec_b64 s[60:61], s[62:63]
	s_xor_b64 s[60:61], exec, s[60:61]
	s_cbranch_execz .LBB2_921
; %bb.920:                              ;   in Loop: Header=BB2_767 Depth=1
	ds_write_b32 v0, v42
	s_trap 2
.LBB2_921:                              ;   in Loop: Header=BB2_767 Depth=1
	s_or_b64 exec, exec, s[58:59]
	;;#ASMSTART
	s_wakeup
	;;#ASMEND
.LBB2_922:                              ;   in Loop: Header=BB2_767 Depth=1
	s_or_b64 exec, exec, s[56:57]
.LBB2_923:                              ;   in Loop: Header=BB2_767 Depth=1
	s_andn2_saveexec_b64 s[44:45], s[44:45]
	s_cbranch_execz .LBB2_925
; %bb.924:                              ;   in Loop: Header=BB2_767 Depth=1
	s_waitcnt vmcnt(0) lgkmcnt(0)
	buffer_wbinvl1_vol
	s_barrier
.LBB2_925:                              ;   in Loop: Header=BB2_767 Depth=1
	s_or_b64 exec, exec, s[44:45]
.LBB2_926:                              ;   in Loop: Header=BB2_767 Depth=1
	s_or_b64 exec, exec, s[20:21]
	s_trap 2
	ds_read_b32 v3, v0
	v_cmp_lt_i32_e32 vcc, 0, v16
	v_and_b32_e32 v2, 16, v44
	s_waitcnt lgkmcnt(0)
	v_readfirstlane_b32 s20, v3
	s_cmp_eq_u32 s20, 0
	s_cselect_b64 s[20:21], -1, 0
	s_and_b64 s[20:21], vcc, s[20:21]
	v_cmp_ne_u32_e32 vcc, 0, v2
	s_and_b64 s[44:45], vcc, s[20:21]
	s_and_saveexec_b64 s[20:21], s[44:45]
	s_cbranch_execz .LBB2_928
; %bb.927:                              ;   in Loop: Header=BB2_767 Depth=1
	s_waitcnt vmcnt(0)
	buffer_wbinvl1_vol
.LBB2_928:                              ;   in Loop: Header=BB2_767 Depth=1
	s_or_b64 exec, exec, s[20:21]
	v_cmp_ne_u32_e32 vcc, 0, v2
	s_and_saveexec_b64 s[20:21], vcc
	s_cbranch_execz .LBB2_765
; %bb.929:                              ;   in Loop: Header=BB2_767 Depth=1
	s_and_saveexec_b64 s[44:45], s[18:19]
	s_cbranch_execz .LBB2_764
; %bb.930:                              ;   in Loop: Header=BB2_767 Depth=1
	buffer_load_dword v2, off, s[0:3], s33 offset:60 ; 4-byte Folded Reload
	buffer_load_dword v3, off, s[0:3], s33 offset:64 ; 4-byte Folded Reload
	s_waitcnt vmcnt(0)
	flat_store_dword v[2:3], v42
	s_branch .LBB2_764
.LBB2_931:
	s_or_b64 exec, exec, s[40:41]
.LBB2_932:
	s_or_b64 exec, exec, s[24:25]
.LBB2_933:
	s_or_b64 exec, exec, s[22:23]
	v_and_b32_e32 v0, 0x800, v44
	v_cmp_eq_u32_e32 vcc, 0, v0
	s_and_saveexec_b64 s[6:7], vcc
	s_cbranch_execz .LBB2_966
; %bb.934:
	v_and_b32_e32 v0, 48, v44
	v_cmp_ne_u32_e32 vcc, 0, v0
	s_and_saveexec_b64 s[4:5], vcc
	s_cbranch_execz .LBB2_936
; %bb.935:
	s_waitcnt vmcnt(0) lgkmcnt(0)
	flat_store_dwordx2 v[60:61], v[8:9] offset:104
.LBB2_936:
	s_or_b64 exec, exec, s[4:5]
	s_movk_i32 s4, 0x88
	v_and_b32_e32 v0, 0x88, v44
	v_cmp_eq_u32_e32 vcc, s4, v0
	s_and_saveexec_b64 s[10:11], vcc
	s_cbranch_execz .LBB2_946
; %bb.937:
	s_waitcnt lgkmcnt(0)
	v_add_u32_e32 v0, -1, v8
	v_and_b32_e32 v0, 7, v0
	v_mad_u64_u32 v[4:5], s[4:5], v0, 24, v[6:7]
	v_and_b32_e32 v2, 64, v44
	v_cmp_eq_u32_e64 s[4:5], 0, v2
	flat_load_dwordx2 v[0:1], v[4:5] offset:8 glc
	s_waitcnt vmcnt(0)
	s_mov_b32 s22, 0
	s_waitcnt lgkmcnt(0)
	v_cmp_ne_u64_e32 vcc, -1, v[0:1]
	s_and_b64 s[4:5], vcc, s[4:5]
	s_and_b64 exec, exec, s[4:5]
	s_cbranch_execz .LBB2_946
; %bb.938:
	s_mov_b64 s[4:5], 0
                                        ; implicit-def: $sgpr12_sgpr13
                                        ; implicit-def: $sgpr14_sgpr15
	s_branch .LBB2_941
.LBB2_939:                              ;   in Loop: Header=BB2_941 Depth=1
	flat_load_dwordx2 v[1:2], v[4:5] offset:8 glc
	s_waitcnt vmcnt(0)
	s_andn2_b64 s[14:15], s[14:15], exec
	s_waitcnt lgkmcnt(0)
	v_cmp_eq_u64_e32 vcc, -1, v[1:2]
	s_orn2_b64 s[18:19], vcc, exec
.LBB2_940:                              ;   in Loop: Header=BB2_941 Depth=1
	s_or_b64 exec, exec, s[20:21]
	s_and_b64 s[16:17], exec, s[18:19]
	s_or_b64 s[4:5], s[16:17], s[4:5]
	s_andn2_b64 s[12:13], s[12:13], exec
	s_and_b64 s[16:17], s[14:15], exec
	s_or_b64 s[12:13], s[12:13], s[16:17]
	s_andn2_b64 exec, exec, s[4:5]
	s_cbranch_execz .LBB2_944
.LBB2_941:                              ; =>This Inner Loop Header: Depth=1
	s_cmpk_lt_i32 s22, 0x270f
	s_cselect_b64 s[16:17], -1, 0
	s_and_b64 vcc, exec, s[16:17]
	s_cbranch_vccnz .LBB2_943
; %bb.942:                              ;   in Loop: Header=BB2_941 Depth=1
	s_trap 2
	ds_read_b64 v[0:1], v0
	s_andn2_b64 s[16:17], s[16:17], exec
	s_mov_b32 s22, 0
	s_waitcnt lgkmcnt(0)
	flat_load_dword v0, v[0:1] glc
	s_waitcnt vmcnt(0) lgkmcnt(0)
	buffer_wbinvl1_vol
	v_cmp_eq_u32_e32 vcc, 0, v0
	s_and_b64 s[18:19], vcc, exec
	s_or_b64 s[16:17], s[16:17], s[18:19]
	s_mov_b64 s[18:19], -1
	s_or_b64 s[14:15], s[14:15], exec
	s_and_saveexec_b64 s[20:21], s[16:17]
	s_cbranch_execz .LBB2_940
	s_branch .LBB2_939
.LBB2_943:                              ;   in Loop: Header=BB2_941 Depth=1
	s_add_i32 s22, s22, 1
                                        ; implicit-def: $vgpr0
	s_mov_b64 s[18:19], -1
	s_or_b64 s[14:15], s[14:15], exec
	s_and_saveexec_b64 s[20:21], s[16:17]
	s_cbranch_execz .LBB2_940
	s_branch .LBB2_939
.LBB2_944:
	s_or_b64 exec, exec, s[4:5]
	s_and_saveexec_b64 s[4:5], s[12:13]
	s_xor_b64 s[4:5], exec, s[4:5]
	s_cbranch_execz .LBB2_946
; %bb.945:
	ds_write_b32 v0, v0
	s_trap 2
.LBB2_946:
	s_or_b64 exec, exec, s[10:11]
	v_and_b32_e32 v0, 0x2000, v44
	v_cmp_ne_u32_e32 vcc, 0, v0
	s_and_saveexec_b64 s[4:5], vcc
	s_cbranch_execz .LBB2_948
; %bb.947:
	s_trap 2
	ds_read_b64 v[0:1], v0
	buffer_load_dword v2, off, s[0:3], s33 offset:72 ; 4-byte Folded Reload
	buffer_load_dword v3, off, s[0:3], s33 offset:76 ; 4-byte Folded Reload
	s_waitcnt vmcnt(0) lgkmcnt(0)
	flat_store_dwordx2 v[2:3], v[0:1] offset:16
.LBB2_948:
	s_or_b64 exec, exec, s[4:5]
	v_cmp_ne_u32_e32 vcc, 64, v45
	s_and_b64 exec, exec, vcc
	s_cbranch_execz .LBB2_966
; %bb.949:
	s_waitcnt vmcnt(0)
	v_cmp_ne_u32_sdwa s[4:5], v45, v59 src0_sel:DWORD src1_sel:WORD_0
	s_and_saveexec_b64 s[10:11], s[4:5]
	s_xor_b64 s[4:5], exec, s[10:11]
	s_cbranch_execz .LBB2_964
; %bb.950:
	v_and_b32_e32 v0, 63, v31
	v_cmp_eq_u32_e32 vcc, 0, v0
	s_and_saveexec_b64 s[10:11], vcc
	s_cbranch_execz .LBB2_963
; %bb.951:
	s_mov_b64 s[14:15], exec
	v_mbcnt_lo_u32_b32 v0, s14, 0
	v_mbcnt_hi_u32_b32 v0, s15, v0
	v_cmp_eq_u32_e32 vcc, 0, v0
	s_waitcnt lgkmcnt(0)
	buffer_wbinvl1_vol
	s_and_saveexec_b64 s[12:13], vcc
	s_cbranch_execz .LBB2_953
; %bb.952:
	s_bcnt1_i32_b64 s14, s[14:15]
	v_mov_b32_e32 v0, s14
	v_mov_b32_e32 v1, 0
	ds_add_u64 v0, v[0:1]
	s_trap 2
.LBB2_953:
	s_or_b64 exec, exec, s[12:13]
	v_lshrrev_b32_e32 v0, 6, v45
	s_trap 2
	ds_read_b64 v[2:3], v0
	s_waitcnt lgkmcnt(0)
	v_add_co_u32_e32 v0, vcc, v26, v0
	v_addc_co_u32_e32 v1, vcc, 0, v27, vcc
	v_cmp_lt_u64_e32 vcc, v[2:3], v[0:1]
	s_and_saveexec_b64 s[12:13], vcc
	s_cbranch_execz .LBB2_962
; %bb.954:
	s_mov_b32 s26, 0
	s_mov_b64 s[14:15], 0
                                        ; implicit-def: $sgpr16_sgpr17
                                        ; implicit-def: $sgpr18_sgpr19
	s_branch .LBB2_956
.LBB2_955:                              ;   in Loop: Header=BB2_956 Depth=1
	s_or_b64 exec, exec, s[22:23]
	s_and_b64 s[20:21], exec, s[24:25]
	s_or_b64 s[14:15], s[20:21], s[14:15]
	s_andn2_b64 s[16:17], s[16:17], exec
	s_and_b64 s[20:21], s[18:19], exec
	s_or_b64 s[16:17], s[16:17], s[20:21]
	s_andn2_b64 exec, exec, s[14:15]
	s_cbranch_execz .LBB2_960
.LBB2_956:                              ; =>This Inner Loop Header: Depth=1
	s_add_i32 s26, s26, 1
	s_cmpk_lg_i32 s26, 0x2710
	s_cselect_b64 s[20:21], -1, 0
	s_and_b64 vcc, exec, s[20:21]
	s_cbranch_vccz .LBB2_958
; %bb.957:                              ;   in Loop: Header=BB2_956 Depth=1
	s_mov_b64 s[24:25], -1
	s_or_b64 s[18:19], s[18:19], exec
	s_and_saveexec_b64 s[22:23], s[20:21]
	s_cbranch_execz .LBB2_955
	s_branch .LBB2_959
.LBB2_958:                              ;   in Loop: Header=BB2_956 Depth=1
	s_trap 2
	ds_read_b64 v[2:3], v0
	s_andn2_b64 s[20:21], s[20:21], exec
	s_mov_b32 s26, 0
	s_waitcnt lgkmcnt(0)
	flat_load_dword v2, v[2:3] glc
	s_waitcnt vmcnt(0) lgkmcnt(0)
	buffer_wbinvl1_vol
	v_cmp_eq_u32_e32 vcc, 0, v2
	s_and_b64 s[22:23], vcc, exec
	s_or_b64 s[20:21], s[20:21], s[22:23]
	s_mov_b64 s[24:25], -1
	s_or_b64 s[18:19], s[18:19], exec
	s_and_saveexec_b64 s[22:23], s[20:21]
	s_cbranch_execz .LBB2_955
.LBB2_959:                              ;   in Loop: Header=BB2_956 Depth=1
	s_sleep 1
	s_trap 2
	ds_read_b64 v[2:3], v0
	s_waitcnt lgkmcnt(0)
	s_andn2_b64 s[18:19], s[18:19], exec
	v_cmp_ge_u64_e32 vcc, v[2:3], v[0:1]
	s_orn2_b64 s[24:25], vcc, exec
	s_branch .LBB2_955
.LBB2_960:
	s_or_b64 exec, exec, s[14:15]
	s_and_saveexec_b64 s[14:15], s[16:17]
	s_xor_b64 s[14:15], exec, s[14:15]
	s_cbranch_execz .LBB2_962
; %bb.961:
	v_mov_b32_e32 v0, 1
	ds_write_b32 v0, v0
	s_trap 2
.LBB2_962:
	s_or_b64 exec, exec, s[12:13]
	;;#ASMSTART
	s_wakeup
	;;#ASMEND
.LBB2_963:
	s_or_b64 exec, exec, s[10:11]
.LBB2_964:
	s_andn2_saveexec_b64 s[4:5], s[4:5]
	s_cbranch_execz .LBB2_966
; %bb.965:
	s_waitcnt lgkmcnt(0)
	buffer_wbinvl1_vol
	s_barrier
.LBB2_966:
	s_or_b64 exec, exec, s[6:7]
.LBB2_967:
	s_andn2_saveexec_b64 s[26:27], s[28:29]
	s_cbranch_execz .LBB2_969
; %bb.968:
	s_getpc_b64 s[4:5]
	s_add_u32 s4, s4, __PRETTY_FUNCTION__._ZN10PrimitivesI6__half10FuncMinMaxIS0_E12FanSymmetricILi1EELi0E11ProtoSimpleILi1ELi1ELi0ELi1ELi0ELi0EELi0ELb0ELi0ELi0ELi0EEC2EiiPKiS9_PKvPvmhhhP15ncclDevWorkCollP14ncclDevWorkP2pii@rel32@lo+4
	s_addc_u32 s5, s5, __PRETTY_FUNCTION__._ZN10PrimitivesI6__half10FuncMinMaxIS0_E12FanSymmetricILi1EELi0E11ProtoSimpleILi1ELi1ELi0ELi1ELi0ELi0EELi0ELb0ELi0ELi0ELi0EEC2EiiPKiS9_PKvPvmhhhP15ncclDevWorkCollP14ncclDevWorkP2pii@rel32@hi+12
	s_getpc_b64 s[6:7]
	s_add_u32 s6, s6, __assert_fail@rel32@lo+4
	s_addc_u32 s7, s7, __assert_fail@rel32@hi+12
	v_mov_b32_e32 v0, s4
	v_mov_b32_e32 v1, s5
	s_swappc_b64 s[30:31], s[6:7]
	; divergent unreachable
.LBB2_969:
	s_or_b64 exec, exec, s[26:27]
	buffer_load_dword v62, off, s[0:3], s33 ; 4-byte Folded Reload
	buffer_load_dword v61, off, s[0:3], s33 offset:4 ; 4-byte Folded Reload
	buffer_load_dword v60, off, s[0:3], s33 offset:8 ; 4-byte Folded Reload
	;; [unrolled: 1-line block ×14, first 2 shown]
	v_readlane_b32 s30, v63, 4
	v_readlane_b32 s31, v63, 5
	;; [unrolled: 1-line block ×6, first 2 shown]
	s_mov_b32 s32, s33
	v_readlane_b32 s4, v63, 6
	s_or_saveexec_b64 s[6:7], -1
	buffer_load_dword v63, off, s[0:3], s33 offset:92 ; 4-byte Folded Reload
	s_mov_b64 exec, s[6:7]
	s_mov_b32 s33, s4
	s_waitcnt vmcnt(0) lgkmcnt(0)
	s_setpc_b64 s[30:31]
.Lfunc_end2:
	.size	_ZN12_GLOBAL__N_17runRingI6__half10FuncMinMaxIS1_E11ProtoSimpleILi1ELi1ELi0ELi1ELi0ELi0EELi0ELi1ELi0EEEviiP15ncclDevWorkColl, .Lfunc_end2-_ZN12_GLOBAL__N_17runRingI6__half10FuncMinMaxIS1_E11ProtoSimpleILi1ELi1ELi0ELi1ELi0ELi0EELi0ELi1ELi0EEEviiP15ncclDevWorkColl
                                        ; -- End function
	.set .L_ZN12_GLOBAL__N_17runRingI6__half10FuncMinMaxIS1_E11ProtoSimpleILi1ELi1ELi0ELi1ELi0ELi0EELi0ELi1ELi0EEEviiP15ncclDevWorkColl.num_vgpr, max(64, .L__assert_fail.num_vgpr)
	.set .L_ZN12_GLOBAL__N_17runRingI6__half10FuncMinMaxIS1_E11ProtoSimpleILi1ELi1ELi0ELi1ELi0ELi0EELi0ELi1ELi0EEEviiP15ncclDevWorkColl.num_agpr, max(0, .L__assert_fail.num_agpr)
	.set .L_ZN12_GLOBAL__N_17runRingI6__half10FuncMinMaxIS1_E11ProtoSimpleILi1ELi1ELi0ELi1ELi0ELi0EELi0ELi1ELi0EEEviiP15ncclDevWorkColl.numbered_sgpr, max(96, .L__assert_fail.numbered_sgpr)
	.set .L_ZN12_GLOBAL__N_17runRingI6__half10FuncMinMaxIS1_E11ProtoSimpleILi1ELi1ELi0ELi1ELi0ELi0EELi0ELi1ELi0EEEviiP15ncclDevWorkColl.num_named_barrier, max(0, .L__assert_fail.num_named_barrier)
	.set .L_ZN12_GLOBAL__N_17runRingI6__half10FuncMinMaxIS1_E11ProtoSimpleILi1ELi1ELi0ELi1ELi0ELi0EELi0ELi1ELi0EEEviiP15ncclDevWorkColl.private_seg_size, 112+max(.L__assert_fail.private_seg_size)
	.set .L_ZN12_GLOBAL__N_17runRingI6__half10FuncMinMaxIS1_E11ProtoSimpleILi1ELi1ELi0ELi1ELi0ELi0EELi0ELi1ELi0EEEviiP15ncclDevWorkColl.uses_vcc, or(1, .L__assert_fail.uses_vcc)
	.set .L_ZN12_GLOBAL__N_17runRingI6__half10FuncMinMaxIS1_E11ProtoSimpleILi1ELi1ELi0ELi1ELi0ELi0EELi0ELi1ELi0EEEviiP15ncclDevWorkColl.uses_flat_scratch, or(0, .L__assert_fail.uses_flat_scratch)
	.set .L_ZN12_GLOBAL__N_17runRingI6__half10FuncMinMaxIS1_E11ProtoSimpleILi1ELi1ELi0ELi1ELi0ELi0EELi0ELi1ELi0EEEviiP15ncclDevWorkColl.has_dyn_sized_stack, or(0, .L__assert_fail.has_dyn_sized_stack)
	.set .L_ZN12_GLOBAL__N_17runRingI6__half10FuncMinMaxIS1_E11ProtoSimpleILi1ELi1ELi0ELi1ELi0ELi0EELi0ELi1ELi0EEEviiP15ncclDevWorkColl.has_recursion, or(1, .L__assert_fail.has_recursion)
	.set .L_ZN12_GLOBAL__N_17runRingI6__half10FuncMinMaxIS1_E11ProtoSimpleILi1ELi1ELi0ELi1ELi0ELi0EELi0ELi1ELi0EEEviiP15ncclDevWorkColl.has_indirect_call, or(0, .L__assert_fail.has_indirect_call)
	.section	.AMDGPU.csdata,"",@progbits
; Function info:
; codeLenInByte = 24488
; TotalNumSgprs: 100
; NumVgprs: 64
; ScratchSize: 176
; MemoryBound: 1
	.text
	.p2align	2                               ; -- Begin function _Z47ncclDevFunc_Reduce_RING_SIMPLE_MinMax_f16_0_0_1v
	.type	_Z47ncclDevFunc_Reduce_RING_SIMPLE_MinMax_f16_0_0_1v,@function
_Z47ncclDevFunc_Reduce_RING_SIMPLE_MinMax_f16_0_0_1v: ; @_Z47ncclDevFunc_Reduce_RING_SIMPLE_MinMax_f16_0_0_1v
; %bb.0:
	s_waitcnt vmcnt(0) expcnt(0) lgkmcnt(0)
	s_mov_b32 s4, s33
	s_mov_b32 s33, s32
	s_or_saveexec_b64 s[6:7], -1
	buffer_store_dword v43, off, s[0:3], s33 offset:16 ; 4-byte Folded Spill
	s_mov_b64 exec, s[6:7]
	v_writelane_b32 v43, s4, 12
	s_addk_i32 s32, 0x800
	buffer_store_dword v40, off, s[0:3], s33 offset:12 ; 4-byte Folded Spill
	buffer_store_dword v41, off, s[0:3], s33 offset:8 ; 4-byte Folded Spill
	;; [unrolled: 1-line block ×3, first 2 shown]
	buffer_store_dword v63, off, s[0:3], s33 ; 4-byte Folded Spill
	v_writelane_b32 v43, s34, 0
	v_writelane_b32 v43, s35, 1
	;; [unrolled: 1-line block ×12, first 2 shown]
	s_trap 2
	ds_read_b32 v0, v0
	v_mov_b32_e32 v40, v31
	v_and_b32_e32 v41, 0x3ff, v40
	s_mov_b32 s48, s12
	s_mov_b64 s[38:39], s[8:9]
	s_waitcnt lgkmcnt(0)
	v_cmp_lt_i32_e32 vcc, v41, v0
	s_and_saveexec_b64 s[4:5], vcc
	s_cbranch_execz .LBB3_5
; %bb.1:
	s_load_dword s6, s[38:39], 0x0
	v_mov_b32_e32 v1, 0
	s_mov_b32 s10, 0
	v_mov_b32_e32 v4, v41
                                        ; implicit-def: $vgpr3
	s_waitcnt lgkmcnt(0)
	s_cmp_lt_u32 s48, s6
	s_cselect_b32 s6, 12, 18
	s_add_u32 s6, s38, s6
	s_addc_u32 s7, s39, 0
	global_load_ushort v1, v1, s[6:7]
	s_trap 2
	ds_read_b32 v2, v0
	s_mov_b64 s[6:7], 0
	s_waitcnt vmcnt(0) lgkmcnt(0)
	v_mul_lo_u32 v2, v2, v1
	s_branch .LBB3_3
.LBB3_2:                                ;   in Loop: Header=BB3_3 Depth=1
	s_or_b64 exec, exec, s[8:9]
	v_add_u32_e32 v4, v4, v1
	v_cmp_ge_i32_e32 vcc, v4, v0
	s_or_b64 s[6:7], vcc, s[6:7]
	v_add_u32_e32 v3, v3, v2
	s_andn2_b64 exec, exec, s[6:7]
	s_cbranch_execz .LBB3_5
.LBB3_3:                                ; =>This Inner Loop Header: Depth=1
	ds_read_b32 v5, v3
	s_waitcnt lgkmcnt(0)
	v_and_b32_e32 v5, 0x1000000, v5
	v_cmp_ne_u32_e32 vcc, 0, v5
	s_and_saveexec_b64 s[8:9], vcc
	s_cbranch_execz .LBB3_2
; %bb.4:                                ;   in Loop: Header=BB3_3 Depth=1
	ds_read_b64 v[5:6], v3 offset:104
	s_waitcnt lgkmcnt(0)
	flat_load_ushort v5, v[5:6]
	v_mov_b32_e32 v6, s10
	s_waitcnt vmcnt(0) lgkmcnt(0)
	v_and_b32_e32 v5, 0xffff, v5
	ds_write_b64 v3, v[5:6] offset:104
	s_branch .LBB3_2
.LBB3_5:
	s_or_b64 exec, exec, s[4:5]
	s_waitcnt vmcnt(0) lgkmcnt(0)
	s_barrier
	s_trap 2
	ds_read_b32 v0, v0
	s_waitcnt lgkmcnt(0)
	v_cmp_gt_i32_e32 vcc, 1, v0
	s_cbranch_vccnz .LBB3_13
; %bb.6:
	s_mov_b32 s49, 0
	v_mov_b32_e32 v42, 6
	s_branch .LBB3_8
.LBB3_7:                                ;   in Loop: Header=BB3_8 Depth=1
	s_or_b64 exec, exec, s[50:51]
	s_trap 2
	ds_read_b32 v0, v0
	s_add_i32 s49, s49, 1
	s_waitcnt lgkmcnt(0)
	v_cmp_lt_i32_e32 vcc, s49, v0
	s_cbranch_vccz .LBB3_13
.LBB3_8:                                ; =>This Inner Loop Header: Depth=1
	s_trap 2
	ds_read_b32 v0, v0
	s_cmp_eq_u32 s49, 0
	s_cbranch_scc1 .LBB3_11
; %bb.9:                                ;   in Loop: Header=BB3_8 Depth=1
	s_trap 2
	s_waitcnt lgkmcnt(0)
	ds_read_b32 v1, v0
	s_waitcnt lgkmcnt(0)
	v_xor_b32_e32 v1, v1, v0
	v_and_b32_e32 v1, 0xff0000, v1
	v_cmp_eq_u32_e32 vcc, 0, v1
	s_cbranch_vccnz .LBB3_11
; %bb.10:                               ;   in Loop: Header=BB3_8 Depth=1
	s_barrier
	ds_read_b32 v0, v0
.LBB3_11:                               ;   in Loop: Header=BB3_8 Depth=1
	s_waitcnt lgkmcnt(0)
	v_lshlrev_b32_sdwa v1, v42, v0 dst_sel:DWORD dst_unused:UNUSED_PAD src0_sel:DWORD src1_sel:BYTE_2
	v_cmp_lt_u32_e32 vcc, v41, v1
	s_and_saveexec_b64 s[50:51], vcc
	s_cbranch_execz .LBB3_7
; %bb.12:                               ;   in Loop: Header=BB3_8 Depth=1
	s_mov_b64 s[4:5], src_shared_base
	s_getpc_b64 s[6:7]
	s_add_u32 s6, s6, _ZN12_GLOBAL__N_17runRingI6__half10FuncMinMaxIS1_E11ProtoSimpleILi1ELi1ELi0ELi1ELi0ELi0EELi0ELi1ELi0EEEviiP15ncclDevWorkColl@rel32@lo+4
	s_addc_u32 s7, s7, _ZN12_GLOBAL__N_17runRingI6__half10FuncMinMaxIS1_E11ProtoSimpleILi1ELi1ELi0ELi1ELi0ELi0EELi0ELi1ELi0EEEviiP15ncclDevWorkColl@rel32@hi+12
	s_mov_b64 s[8:9], s[38:39]
	s_mov_b32 s12, s48
	v_mov_b32_e32 v31, v40
	v_mov_b32_e32 v0, v41
	;; [unrolled: 1-line block ×3, first 2 shown]
	s_swappc_b64 s[30:31], s[6:7]
	s_branch .LBB3_7
.LBB3_13:
	buffer_load_dword v63, off, s[0:3], s33 ; 4-byte Folded Reload
	buffer_load_dword v42, off, s[0:3], s33 offset:4 ; 4-byte Folded Reload
	buffer_load_dword v41, off, s[0:3], s33 offset:8 ; 4-byte Folded Reload
	;; [unrolled: 1-line block ×3, first 2 shown]
	v_readlane_b32 s30, v43, 10
	v_readlane_b32 s31, v43, 11
	;; [unrolled: 1-line block ×12, first 2 shown]
	s_mov_b32 s32, s33
	v_readlane_b32 s4, v43, 12
	s_or_saveexec_b64 s[6:7], -1
	buffer_load_dword v43, off, s[0:3], s33 offset:16 ; 4-byte Folded Reload
	s_mov_b64 exec, s[6:7]
	s_mov_b32 s33, s4
	s_waitcnt vmcnt(0)
	s_setpc_b64 s[30:31]
.Lfunc_end3:
	.size	_Z47ncclDevFunc_Reduce_RING_SIMPLE_MinMax_f16_0_0_1v, .Lfunc_end3-_Z47ncclDevFunc_Reduce_RING_SIMPLE_MinMax_f16_0_0_1v
                                        ; -- End function
	.set .L_Z47ncclDevFunc_Reduce_RING_SIMPLE_MinMax_f16_0_0_1v.num_vgpr, max(64, .L_ZN12_GLOBAL__N_17runRingI6__half10FuncMinMaxIS1_E11ProtoSimpleILi1ELi1ELi0ELi1ELi0ELi0EELi0ELi1ELi0EEEviiP15ncclDevWorkColl.num_vgpr)
	.set .L_Z47ncclDevFunc_Reduce_RING_SIMPLE_MinMax_f16_0_0_1v.num_agpr, max(0, .L_ZN12_GLOBAL__N_17runRingI6__half10FuncMinMaxIS1_E11ProtoSimpleILi1ELi1ELi0ELi1ELi0ELi0EELi0ELi1ELi0EEEviiP15ncclDevWorkColl.num_agpr)
	.set .L_Z47ncclDevFunc_Reduce_RING_SIMPLE_MinMax_f16_0_0_1v.numbered_sgpr, max(52, .L_ZN12_GLOBAL__N_17runRingI6__half10FuncMinMaxIS1_E11ProtoSimpleILi1ELi1ELi0ELi1ELi0ELi0EELi0ELi1ELi0EEEviiP15ncclDevWorkColl.numbered_sgpr)
	.set .L_Z47ncclDevFunc_Reduce_RING_SIMPLE_MinMax_f16_0_0_1v.num_named_barrier, max(0, .L_ZN12_GLOBAL__N_17runRingI6__half10FuncMinMaxIS1_E11ProtoSimpleILi1ELi1ELi0ELi1ELi0ELi0EELi0ELi1ELi0EEEviiP15ncclDevWorkColl.num_named_barrier)
	.set .L_Z47ncclDevFunc_Reduce_RING_SIMPLE_MinMax_f16_0_0_1v.private_seg_size, 32+max(.L_ZN12_GLOBAL__N_17runRingI6__half10FuncMinMaxIS1_E11ProtoSimpleILi1ELi1ELi0ELi1ELi0ELi0EELi0ELi1ELi0EEEviiP15ncclDevWorkColl.private_seg_size)
	.set .L_Z47ncclDevFunc_Reduce_RING_SIMPLE_MinMax_f16_0_0_1v.uses_vcc, or(1, .L_ZN12_GLOBAL__N_17runRingI6__half10FuncMinMaxIS1_E11ProtoSimpleILi1ELi1ELi0ELi1ELi0ELi0EELi0ELi1ELi0EEEviiP15ncclDevWorkColl.uses_vcc)
	.set .L_Z47ncclDevFunc_Reduce_RING_SIMPLE_MinMax_f16_0_0_1v.uses_flat_scratch, or(0, .L_ZN12_GLOBAL__N_17runRingI6__half10FuncMinMaxIS1_E11ProtoSimpleILi1ELi1ELi0ELi1ELi0ELi0EELi0ELi1ELi0EEEviiP15ncclDevWorkColl.uses_flat_scratch)
	.set .L_Z47ncclDevFunc_Reduce_RING_SIMPLE_MinMax_f16_0_0_1v.has_dyn_sized_stack, or(0, .L_ZN12_GLOBAL__N_17runRingI6__half10FuncMinMaxIS1_E11ProtoSimpleILi1ELi1ELi0ELi1ELi0ELi0EELi0ELi1ELi0EEEviiP15ncclDevWorkColl.has_dyn_sized_stack)
	.set .L_Z47ncclDevFunc_Reduce_RING_SIMPLE_MinMax_f16_0_0_1v.has_recursion, or(1, .L_ZN12_GLOBAL__N_17runRingI6__half10FuncMinMaxIS1_E11ProtoSimpleILi1ELi1ELi0ELi1ELi0ELi0EELi0ELi1ELi0EEEviiP15ncclDevWorkColl.has_recursion)
	.set .L_Z47ncclDevFunc_Reduce_RING_SIMPLE_MinMax_f16_0_0_1v.has_indirect_call, or(0, .L_ZN12_GLOBAL__N_17runRingI6__half10FuncMinMaxIS1_E11ProtoSimpleILi1ELi1ELi0ELi1ELi0ELi0EELi0ELi1ELi0EEEviiP15ncclDevWorkColl.has_indirect_call)
	.section	.AMDGPU.csdata,"",@progbits
; Function info:
; codeLenInByte = 800
; TotalNumSgprs: 100
; NumVgprs: 64
; ScratchSize: 208
; MemoryBound: 0
	.text
	.p2align	2                               ; -- Begin function _ZN12_GLOBAL__N_17runRingI6__half10FuncMinMaxIS1_E11ProtoSimpleILi1ELi1ELi0ELi2ELi0ELi0EELi0ELi2ELi0EEEviiP15ncclDevWorkColl
	.type	_ZN12_GLOBAL__N_17runRingI6__half10FuncMinMaxIS1_E11ProtoSimpleILi1ELi1ELi0ELi2ELi0ELi0EELi0ELi2ELi0EEEviiP15ncclDevWorkColl,@function
_ZN12_GLOBAL__N_17runRingI6__half10FuncMinMaxIS1_E11ProtoSimpleILi1ELi1ELi0ELi2ELi0ELi0EELi0ELi2ELi0EEEviiP15ncclDevWorkColl: ; @_ZN12_GLOBAL__N_17runRingI6__half10FuncMinMaxIS1_E11ProtoSimpleILi1ELi1ELi0ELi2ELi0ELi0EELi0ELi2ELi0EEEviiP15ncclDevWorkColl
; %bb.0:
	s_waitcnt vmcnt(0) expcnt(0) lgkmcnt(0)
	s_mov_b32 s4, s33
	s_mov_b32 s33, s32
	s_or_saveexec_b64 s[6:7], -1
	buffer_store_dword v63, off, s[0:3], s33 offset:128 ; 4-byte Folded Spill
	s_mov_b64 exec, s[6:7]
	v_writelane_b32 v63, s4, 8
	s_addk_i32 s32, 0x2400
	buffer_store_dword v40, off, s[0:3], s33 offset:56 ; 4-byte Folded Spill
	buffer_store_dword v41, off, s[0:3], s33 offset:52 ; 4-byte Folded Spill
	;; [unrolled: 1-line block ×14, first 2 shown]
	buffer_store_dword v62, off, s[0:3], s33 ; 4-byte Folded Spill
	v_writelane_b32 v63, s34, 0
	v_writelane_b32 v63, s35, 1
	;; [unrolled: 1-line block ×8, first 2 shown]
	v_mov_b32_e32 v59, v1
	s_trap 2
	ds_read_b64 v[14:15], v0
	ds_read_b32 v1, v0
	v_mov_b32_e32 v56, v0
	flat_load_ushort v16, v[2:3] offset:8
	flat_load_dwordx2 v[8:9], v[2:3]
                                        ; implicit-def: $vgpr17_vgpr18
                                        ; implicit-def: $vgpr45_vgpr46
	s_waitcnt lgkmcnt(0)
	v_ashrrev_i32_e32 v5, 31, v15
	v_mov_b32_e32 v4, v15
	v_lshlrev_b64 v[4:5], 2, v[4:5]
	v_add_co_u32_e32 v0, vcc, v14, v4
	v_addc_co_u32_e32 v5, vcc, v15, v5, vcc
	v_add_co_u32_e32 v4, vcc, -4, v0
	v_addc_co_u32_e32 v5, vcc, -1, v5, vcc
	flat_load_dword v25, v[4:5]
                                        ; implicit-def: $vgpr4_vgpr5
	s_waitcnt vmcnt(0)
	v_mov_b32_e32 v15, v9
	v_cmp_ne_u32_sdwa s[4:5], v1, v8 src0_sel:DWORD src1_sel:BYTE_0
	s_and_saveexec_b64 s[6:7], s[4:5]
	s_xor_b64 s[4:5], exec, s[6:7]
	s_cbranch_execz .LBB4_6
; %bb.1:
	v_not_b32_sdwa v0, v8 dst_sel:DWORD dst_unused:UNUSED_PAD src0_sel:BYTE_0
	v_cmp_ne_u32_sdwa s[6:7], v1, v8 src0_sel:DWORD src1_sel:BYTE_1
                                        ; implicit-def: $vgpr17_vgpr18
                                        ; implicit-def: $vgpr4_vgpr5
                                        ; implicit-def: $vgpr45_vgpr46
	s_and_saveexec_b64 s[10:11], s[6:7]
	s_xor_b64 s[6:7], exec, s[10:11]
	s_cbranch_execz .LBB4_3
; %bb.2:
	flat_load_dwordx4 v[4:7], v[2:3] offset:72
	flat_load_dwordx2 v[8:9], v[2:3] offset:96
	v_add_u32_e32 v0, v1, v0
	v_ashrrev_i32_e32 v1, 31, v0
	s_waitcnt vmcnt(0) lgkmcnt(0)
	v_mul_lo_u32 v1, v6, v1
	v_mad_u64_u32 v[45:46], s[10:11], v6, v0, v[4:5]
	v_mul_lo_u32 v0, v7, v0
	v_mov_b32_e32 v4, v6
	v_lshrrev_b64 v[17:18], 13, v[8:9]
	v_mov_b32_e32 v5, v7
	v_add3_u32 v46, v0, v46, v1
                                        ; implicit-def: $vgpr8
                                        ; implicit-def: $vgpr0
.LBB4_3:
	s_andn2_saveexec_b64 s[6:7], s[6:7]
	s_cbranch_execz .LBB4_5
; %bb.4:
	flat_load_dwordx4 v[9:12], v[2:3] offset:72
	flat_load_dwordx4 v[4:7], v[2:3] offset:88
	v_add_u32_sdwa v0, v8, v0 dst_sel:DWORD dst_unused:UNUSED_PAD src0_sel:BYTE_1 src1_sel:DWORD
	v_ashrrev_i32_e32 v1, 31, v0
	s_waitcnt vmcnt(0) lgkmcnt(0)
	v_mul_lo_u32 v1, v11, v1
	v_mad_u64_u32 v[45:46], s[10:11], v11, v0, v[9:10]
	v_mul_lo_u32 v0, v12, v0
	v_lshrrev_b32_e32 v17, 2, v7
	v_add3_u32 v46, v0, v46, v1
.LBB4_5:
	s_or_b64 exec, exec, s[6:7]
.LBB4_6:
	s_andn2_saveexec_b64 s[4:5], s[4:5]
	s_cbranch_execz .LBB4_8
; %bb.7:
	flat_load_dwordx2 v[0:1], v[2:3] offset:96
	flat_load_dwordx2 v[4:5], v[2:3] offset:72
	v_mov_b32_e32 v45, 0
	v_mov_b32_e32 v46, 0
	s_waitcnt vmcnt(0) lgkmcnt(0)
	v_lshlrev_b64 v[17:18], 8, v[0:1]
.LBB4_8:
	s_or_b64 exec, exec, s[4:5]
	s_trap 2
	ds_read_b64 v[0:1], v0
	s_waitcnt lgkmcnt(0)
	v_cmp_ne_u32_e32 vcc, -1, v0
	v_cndmask_b32_e64 v24, 0, 1, vcc
	v_cmp_ne_u32_e32 vcc, -1, v1
	v_addc_co_u32_e64 v0, s[4:5], 0, v24, vcc
	v_lshlrev_b32_e32 v1, 1, v0
	v_cmp_le_u32_e64 s[4:5], v1, v59
	s_and_saveexec_b64 s[6:7], s[4:5]
	s_xor_b64 s[28:29], exec, s[6:7]
	s_cbranch_execz .LBB4_1319
; %bb.9:
	flat_load_dwordx4 v[10:13], v[2:3] offset:16
	flat_load_dwordx2 v[18:19], v[2:3] offset:104
	s_trap 2
	s_load_dword s4, s[8:9], 0x0
	v_mov_b32_e32 v1, 0
	v_mov_b32_e32 v60, 4
	s_waitcnt lgkmcnt(0)
	s_cmp_lt_u32 s12, s4
	s_cselect_b32 s4, 12, 18
	s_add_u32 s4, s8, s4
	s_addc_u32 s5, s9, 0
	global_load_ushort v62, v1, s[4:5]
	ds_read_b32 v1, v0
	v_cmp_ge_u32_e64 s[4:5], v56, v24
	s_waitcnt lgkmcnt(0)
	v_readfirstlane_b32 s12, v1
	s_and_saveexec_b64 s[6:7], s[4:5]
	s_cbranch_execz .LBB4_19
; %bb.10:
	v_cmp_ge_u32_e64 s[4:5], v56, v0
                                        ; implicit-def: $vgpr60
	s_and_saveexec_b64 s[10:11], s[4:5]
	s_xor_b64 s[4:5], exec, s[10:11]
	s_cbranch_execz .LBB4_16
; %bb.11:
	v_cndmask_b32_e64 v1, 0, 1, vcc
	v_sub_u32_e32 v1, v59, v1
	v_cmp_ge_u32_e32 vcc, v56, v1
	s_and_saveexec_b64 s[10:11], vcc
	s_xor_b64 s[10:11], exec, s[10:11]
; %bb.12:
                                        ; implicit-def: $vgpr0
; %bb.13:
	s_or_saveexec_b64 s[10:11], s[10:11]
	v_mov_b32_e32 v60, 16
	s_xor_b64 exec, exec, s[10:11]
; %bb.14:
	v_sub_u32_e32 v0, v59, v0
	v_cmp_lt_i32_e32 vcc, v56, v0
	v_cndmask_b32_e64 v60, 32, 0, vcc
; %bb.15:
	s_or_b64 exec, exec, s[10:11]
.LBB4_16:
	s_andn2_saveexec_b64 s[4:5], s[4:5]
; %bb.17:
	v_mov_b32_e32 v60, 8
; %bb.18:
	s_or_b64 exec, exec, s[4:5]
.LBB4_19:
	s_or_b64 exec, exec, s[6:7]
	v_and_b32_e32 v0, 36, v60
	v_cmp_ne_u32_e32 vcc, 0, v0
	v_mov_b32_e32 v20, -1
	s_and_saveexec_b64 s[4:5], vcc
	s_cbranch_execz .LBB4_21
; %bb.20:
	s_trap 2
	ds_read_b32 v20, v0
.LBB4_21:
	s_or_b64 exec, exec, s[4:5]
	v_and_b32_e32 v0, 24, v60
	v_cmp_ne_u32_e64 s[4:5], 0, v0
	s_and_saveexec_b64 s[6:7], s[4:5]
	s_cbranch_execz .LBB4_23
; %bb.22:
	s_trap 2
	s_waitcnt lgkmcnt(0)
	ds_read_b32 v20, v0
.LBB4_23:
	s_or_b64 exec, exec, s[6:7]
	v_lshrrev_b64 v[0:1], 31, v[15:16]
	v_mov_b32_e32 v26, 0
	v_mov_b32_e32 v6, 0
	;; [unrolled: 1-line block ×3, first 2 shown]
	v_and_b32_e32 v2, 3, v0
	v_mov_b32_e32 v7, 0
	s_waitcnt lgkmcnt(0)
	v_ashrrev_i32_e32 v21, 31, v20
                                        ; implicit-def: $vgpr0_vgpr1
                                        ; kill: killed $vgpr0_vgpr1
                                        ; implicit-def: $vgpr58
                                        ; implicit-def: $vgpr38_vgpr39
                                        ; implicit-def: $vgpr34_vgpr35
                                        ; implicit-def: $vgpr32_vgpr33
	s_and_saveexec_b64 s[4:5], vcc
	s_cbranch_execz .LBB4_33
; %bb.24:
	s_trap 2
	ds_read_b64 v[0:1], v0
	v_lshlrev_b64 v[6:7], 3, v[20:21]
	v_and_b32_e32 v3, 0xffff, v2
	s_movk_i32 s6, 0xa8
	s_waitcnt lgkmcnt(0)
	v_add_co_u32_e32 v0, vcc, v0, v6
	v_addc_co_u32_e32 v1, vcc, v1, v7, vcc
	flat_load_dwordx2 v[0:1], v[0:1]
	s_waitcnt vmcnt(0) lgkmcnt(0)
	v_mad_u64_u32 v[22:23], s[6:7], v3, s6, v[0:1]
	flat_load_dword v0, v[22:23] offset:640
	s_waitcnt vmcnt(0) lgkmcnt(0)
	v_cmp_eq_u32_e32 vcc, 1, v0
                                        ; implicit-def: $vgpr0_vgpr1
                                        ; kill: killed $vgpr0_vgpr1
	s_and_saveexec_b64 s[6:7], vcc
	s_cbranch_execz .LBB4_26
; %bb.25:
	flat_load_dwordx2 v[6:7], v[22:23] offset:648
	v_or_b32_e32 v60, 0x2000, v60
	s_waitcnt vmcnt(0) lgkmcnt(0)
	flat_load_dwordx2 v[0:1], v[6:7]
	s_trap 2
	s_waitcnt vmcnt(0) lgkmcnt(0)
	ds_write_b64 v0, v[0:1]
	flat_load_dwordx2 v[0:1], v[6:7] offset:8
	s_waitcnt vmcnt(0) lgkmcnt(0)
	ds_write_b64 v0, v[0:1]
	buffer_store_dword v6, off, s[0:3], s33 offset:104 ; 4-byte Folded Spill
	s_nop 0
	buffer_store_dword v7, off, s[0:3], s33 offset:108 ; 4-byte Folded Spill
	flat_load_dwordx2 v[0:1], v[6:7] offset:16
	s_waitcnt vmcnt(0) lgkmcnt(0)
	ds_write_b64 v0, v[0:1]
.LBB4_26:
	s_or_b64 exec, exec, s[6:7]
	flat_load_dwordx2 v[8:9], v[22:23] offset:608
	v_and_b32_e32 v0, 32, v60
	v_cmp_ne_u32_e32 vcc, 0, v0
                                        ; implicit-def: $vgpr32_vgpr33
	s_and_saveexec_b64 s[6:7], vcc
	s_cbranch_execz .LBB4_28
; %bb.27:
	flat_load_dwordx2 v[32:33], v[22:23] offset:560
	s_waitcnt vmcnt(0) lgkmcnt(0)
	flat_store_dwordx2 v[32:33], v[8:9]
.LBB4_28:
	s_or_b64 exec, exec, s[6:7]
	v_add_co_u32_e32 v26, vcc, 0x1f8, v22
	v_addc_co_u32_e32 v27, vcc, 0, v23, vcc
	v_and_b32_e32 v0, 4, v60
	v_mov_b32_e32 v6, 0
	v_mov_b32_e32 v7, 0
	v_cmp_ne_u32_e32 vcc, 0, v0
                                        ; implicit-def: $vgpr58
                                        ; implicit-def: $vgpr38_vgpr39
                                        ; implicit-def: $vgpr34_vgpr35
	s_and_saveexec_b64 s[6:7], vcc
	s_cbranch_execz .LBB4_32
; %bb.29:
	v_and_b32_e32 v0, 0x800, v60
	v_cmp_eq_u32_e32 vcc, 0, v0
	s_and_saveexec_b64 s[10:11], vcc
	s_cbranch_execz .LBB4_31
; %bb.30:
	s_trap 2
	ds_write_b64 v0, v[26:27]
.LBB4_31:
	s_or_b64 exec, exec, s[10:11]
	flat_load_dwordx2 v[32:33], v[22:23] offset:552
	v_or_b32_e32 v1, 0x100, v60
	s_waitcnt vmcnt(0) lgkmcnt(0)
	flat_load_dwordx2 v[38:39], v[32:33] glc
	flat_load_dword v0, v[22:23] offset:576
	flat_load_dwordx2 v[6:7], v[22:23] offset:600
	flat_load_dwordx2 v[34:35], v[22:23] offset:520
	s_waitcnt vmcnt(0) lgkmcnt(0)
	v_ashrrev_i32_e32 v58, 1, v0
	v_cmp_eq_u64_e32 vcc, 0, v[6:7]
	v_cndmask_b32_e32 v60, v1, v60, vcc
.LBB4_32:
	s_or_b64 exec, exec, s[6:7]
.LBB4_33:
	s_or_b64 exec, exec, s[4:5]
	v_and_b32_e32 v0, 24, v60
	v_cmp_ne_u32_e32 vcc, 0, v0
                                        ; implicit-def: $vgpr0_vgpr1
                                        ; kill: killed $vgpr0_vgpr1
	s_and_saveexec_b64 s[4:5], vcc
	s_cbranch_execz .LBB4_41
; %bb.34:
	s_trap 2
	ds_read_b64 v[0:1], v0
	v_lshlrev_b64 v[6:7], 3, v[20:21]
	v_and_b32_e32 v2, 0xffff, v2
	s_movk_i32 s6, 0xa8
	s_waitcnt lgkmcnt(0)
	v_add_co_u32_e32 v0, vcc, v0, v6
	v_addc_co_u32_e32 v1, vcc, v1, v7, vcc
	flat_load_dwordx2 v[0:1], v[0:1]
	s_waitcnt vmcnt(0) lgkmcnt(0)
	v_mad_u64_u32 v[26:27], s[6:7], v2, s6, v[0:1]
	v_or_b32_e32 v0, 0x100, v60
	flat_load_dwordx4 v[6:9], v[26:27] offset:96
	s_waitcnt vmcnt(0) lgkmcnt(0)
	v_cmp_eq_u64_e32 vcc, 0, v[6:7]
	v_cndmask_b32_e32 v60, v0, v60, vcc
	v_and_b32_e32 v0, 16, v60
	v_cmp_ne_u32_e32 vcc, 0, v0
                                        ; implicit-def: $vgpr0_vgpr1
                                        ; kill: killed $vgpr0_vgpr1
	s_and_saveexec_b64 s[6:7], vcc
	s_cbranch_execz .LBB4_36
; %bb.35:
	flat_load_dwordx2 v[32:33], v[26:27] offset:48
	flat_load_dwordx2 v[0:1], v[26:27] offset:120
	s_waitcnt vmcnt(0) lgkmcnt(0)
	buffer_store_dword v0, off, s[0:3], s33 offset:60 ; 4-byte Folded Spill
	s_nop 0
	buffer_store_dword v1, off, s[0:3], s33 offset:64 ; 4-byte Folded Spill
	flat_load_dwordx2 v[34:35], v[26:27] offset:16
.LBB4_36:
	s_or_b64 exec, exec, s[6:7]
	v_and_b32_e32 v0, 8, v60
	v_cmp_ne_u32_e32 vcc, 0, v0
	s_and_saveexec_b64 s[6:7], vcc
	s_cbranch_execz .LBB4_40
; %bb.37:
	v_and_b32_e32 v0, 0x800, v60
	v_cmp_eq_u32_e32 vcc, 0, v0
	s_and_saveexec_b64 s[10:11], vcc
	s_cbranch_execz .LBB4_39
; %bb.38:
	s_trap 2
	ds_write_b64 v0, v[26:27]
.LBB4_39:
	s_or_b64 exec, exec, s[10:11]
	flat_load_dwordx2 v[32:33], v[26:27] offset:56
	s_waitcnt vmcnt(0) lgkmcnt(0)
	flat_load_dwordx2 v[38:39], v[32:33] glc
	flat_load_dword v0, v[26:27] offset:72
	flat_load_dwordx2 v[34:35], v[26:27] offset:16
	s_waitcnt vmcnt(0) lgkmcnt(0)
	v_ashrrev_i32_e32 v58, 1, v0
.LBB4_40:
	s_or_b64 exec, exec, s[6:7]
.LBB4_41:
	s_or_b64 exec, exec, s[4:5]
	v_cmp_eq_u32_e64 s[4:5], 0, v56
	s_and_saveexec_b64 s[6:7], s[4:5]
	s_cbranch_execz .LBB4_43
; %bb.42:
	s_waitcnt vmcnt(0)
	v_mov_b32_e32 v0, v12
	v_mov_b32_e32 v1, v13
	;; [unrolled: 1-line block ×4, first 2 shown]
	ds_write2_b64 v0, v[0:1], v[2:3] offset1:1
	v_mov_b32_e32 v0, 0
	v_mov_b32_e32 v1, v0
	s_trap 2
	ds_write_b64 v0, v[0:1]
	ds_write_b64 v0, v[18:19]
.LBB4_43:
	s_or_b64 exec, exec, s[6:7]
	s_ashr_i32 s6, s12, 31
	s_lshr_b32 s6, s6, 29
	s_add_i32 s12, s12, s6
	v_bfe_u32 v0, v15, 1, 30
	v_and_b32_e32 v48, 0x1fffff00, v17
	v_mov_b32_e32 v49, 0
	s_ashr_i32 s30, s12, 4
	v_cmp_ne_u32_e32 vcc, v25, v0
                                        ; implicit-def: $vgpr36_vgpr37
	s_and_saveexec_b64 s[6:7], vcc
	s_xor_b64 s[40:41], exec, s[6:7]
	s_cbranch_execz .LBB4_1113
; %bb.44:
	v_cmp_ne_u32_e32 vcc, v14, v0
                                        ; implicit-def: $vgpr36_vgpr37
	s_and_saveexec_b64 s[6:7], vcc
	s_xor_b64 s[42:43], exec, s[6:7]
	s_cbranch_execz .LBB4_584
; %bb.45:
	v_mov_b32_e32 v36, 0
	v_cmp_ne_u64_e32 vcc, 0, v[4:5]
	v_mov_b32_e32 v37, 0
	s_and_saveexec_b64 s[44:45], vcc
	s_cbranch_execz .LBB4_583
; %bb.46:
	v_and_b32_e32 v0, 63, v31
	v_lshrrev_b32_e32 v50, 6, v56
	v_cmp_eq_u32_e64 s[12:13], 0, v0
	v_and_b32_e32 v1, 63, v56
	v_lshlrev_b32_e32 v0, 11, v50
	v_lshl_or_b32 v0, v1, 4, v0
	buffer_store_dword v26, off, s[0:3], s33 offset:84 ; 4-byte Folded Spill
	s_nop 0
	buffer_store_dword v27, off, s[0:3], s33 offset:88 ; 4-byte Folded Spill
	s_trap 2
	s_waitcnt vmcnt(0)
	buffer_store_dword v62, off, s[0:3], s33 offset:100 ; 4-byte Folded Spill
	buffer_store_dword v31, off, s[0:3], s33 offset:96 ; 4-byte Folded Spill
	;; [unrolled: 1-line block ×5, first 2 shown]
	v_lshlrev_b32_e32 v0, 1, v59
	v_cmp_le_u32_e64 s[14:15], v1, v24
	v_cmp_lt_u32_e64 s[16:17], v1, v24
	v_and_b32_e32 v2, 0x7f80, v0
	buffer_load_dword v0, off, s[0:3], s33 offset:60 ; 4-byte Folded Reload
	buffer_load_dword v1, off, s[0:3], s33 offset:64 ; 4-byte Folded Reload
	s_lshr_b32 s6, s30, 27
	s_add_i32 s6, s30, s6
	v_cmp_eq_u32_e32 vcc, 64, v59
	v_cmp_ne_u32_sdwa s[46:47], v59, v62 src0_sel:DWORD src1_sel:WORD_0
	v_lshrrev_b32_e32 v62, 6, v59
	v_mov_b32_e32 v54, 0
	v_mov_b32_e32 v36, 0
	s_ashr_i32 s31, s6, 5
	v_cmp_ge_u32_e64 s[6:7], v56, v59
	v_ashrrev_i32_e32 v27, 31, v58
	v_cmp_ne_u32_e64 s[10:11], 64, v59
	v_mov_b32_e32 v52, 0
	v_lshlrev_b32_e32 v3, 11, v62
	v_lshlrev_b32_e32 v47, 10, v62
	s_mov_b64 s[56:57], 0
	v_mov_b32_e32 v55, 0
	v_mov_b32_e32 v37, 0
	s_movk_i32 s34, 0x108
	v_mov_b32_e32 v51, 1
	s_xor_b64 s[58:59], vcc, -1
	s_movk_i32 s35, 0x7c00
	s_movk_i32 s36, 0x7c01
	s_mov_b32 s37, 0x7060302
	s_mov_b32 s38, 0x5040100
	v_mov_b32_e32 v26, 0xc8
	v_mov_b32_e32 v59, 0x90
	;; [unrolled: 1-line block ×3, first 2 shown]
	buffer_store_dword v56, off, s[0:3], s33 offset:80 ; 4-byte Folded Spill
	buffer_store_dword v45, off, s[0:3], s33 offset:68 ; 4-byte Folded Spill
	s_nop 0
	buffer_store_dword v46, off, s[0:3], s33 offset:72 ; 4-byte Folded Spill
	buffer_store_dword v58, off, s[0:3], s33 offset:76 ; 4-byte Folded Spill
	;; [unrolled: 1-line block ×4, first 2 shown]
	s_waitcnt vmcnt(0)
	v_cmp_eq_u64_e64 s[18:19], 0, v[0:1]
	s_branch .LBB4_49
.LBB4_47:                               ;   in Loop: Header=BB4_49 Depth=1
	s_or_b64 exec, exec, s[20:21]
.LBB4_48:                               ;   in Loop: Header=BB4_49 Depth=1
	s_or_b64 exec, exec, s[22:23]
	v_add_co_u32_e32 v54, vcc, v54, v48
	v_addc_co_u32_e32 v55, vcc, 0, v55, vcc
	v_cmp_ge_u64_e32 vcc, v[54:55], v[4:5]
	s_or_b64 s[56:57], vcc, s[56:57]
	s_andn2_b64 exec, exec, s[56:57]
	s_cbranch_execz .LBB4_582
.LBB4_49:                               ; =>This Loop Header: Depth=1
                                        ;     Child Loop BB4_58 Depth 2
                                        ;     Child Loop BB4_86 Depth 2
                                        ;     Child Loop BB4_105 Depth 2
                                        ;     Child Loop BB4_130 Depth 2
                                        ;     Child Loop BB4_326 Depth 2
                                        ;     Child Loop BB4_397 Depth 2
                                        ;     Child Loop BB4_497 Depth 2
                                        ;     Child Loop BB4_512 Depth 2
                                        ;     Child Loop BB4_537 Depth 2
                                        ;     Child Loop BB4_565 Depth 2
	v_sub_co_u32_e32 v0, vcc, v4, v54
	v_subb_co_u32_e32 v1, vcc, v5, v55, vcc
	v_cmp_lt_u64_e32 vcc, v[48:49], v[0:1]
	v_cndmask_b32_e64 v41, v1, 0, vcc
	v_cndmask_b32_e32 v40, v0, v48, vcc
	v_cmp_eq_u64_e32 vcc, 0, v[40:41]
	v_add_u32_e32 v0, 15, v40
	v_and_b32_e32 v0, 0x3ffffff0, v0
	s_or_b64 s[60:61], s[6:7], vcc
	v_max_i32_e32 v30, s31, v0
	s_xor_b64 s[20:21], s[60:61], -1
	v_mov_b32_e32 v0, 0
	s_and_saveexec_b64 s[62:63], s[20:21]
	s_cbranch_execz .LBB4_530
; %bb.50:                               ;   in Loop: Header=BB4_49 Depth=1
	s_and_saveexec_b64 s[20:21], s[4:5]
	s_cbranch_execz .LBB4_52
; %bb.51:                               ;   in Loop: Header=BB4_49 Depth=1
	s_trap 2
	ds_read_b64 v[0:1], v0
	s_waitcnt vmcnt(0)
	v_lshlrev_b64 v[10:11], 1, v[45:46]
	v_mov_b32_e32 v53, v52
	s_waitcnt lgkmcnt(0)
	v_add_co_u32_e32 v10, vcc, v0, v10
	v_addc_co_u32_e32 v11, vcc, v1, v11, vcc
	v_lshlrev_b64 v[0:1], 1, v[54:55]
	v_add_co_u32_e32 v0, vcc, v10, v0
	v_addc_co_u32_e32 v1, vcc, v11, v1, vcc
	ds_write_b64 v0, v[0:1]
	ds_write_b64 v0, v[52:53]
.LBB4_52:                               ;   in Loop: Header=BB4_49 Depth=1
	s_or_b64 exec, exec, s[20:21]
	v_and_b32_e32 v0, 12, v60
	v_min_u32_e32 v30, v30, v40
	v_cmp_ne_u32_e32 vcc, 0, v0
	s_and_saveexec_b64 s[22:23], vcc
	s_cbranch_execz .LBB4_78
; %bb.53:                               ;   in Loop: Header=BB4_49 Depth=1
	v_and_b32_e32 v14, 8, v60
	s_waitcnt vmcnt(0)
	v_add_co_u32_e32 v0, vcc, v38, v14
	v_addc_co_u32_e32 v1, vcc, 0, v39, vcc
	s_waitcnt lgkmcnt(0)
	v_add_co_u32_e32 v10, vcc, 1, v8
	v_addc_co_u32_e32 v11, vcc, 0, v9, vcc
	v_cmp_lt_u64_e32 vcc, v[0:1], v[10:11]
	s_and_saveexec_b64 s[24:25], vcc
	s_cbranch_execz .LBB4_65
; %bb.54:                               ;   in Loop: Header=BB4_49 Depth=1
	v_and_b32_e32 v0, 64, v60
	s_mov_b32 s39, 0
	v_cmp_eq_u32_e32 vcc, 0, v0
	s_mov_b64 s[26:27], 0
                                        ; implicit-def: $sgpr72_sgpr73
                                        ; implicit-def: $sgpr74_sgpr75
                                        ; implicit-def: $sgpr76_sgpr77
	s_branch .LBB4_58
.LBB4_55:                               ;   in Loop: Header=BB4_58 Depth=2
	s_waitcnt vmcnt(0) lgkmcnt(0)
	v_add_co_u32_e64 v12, s[20:21], v38, v14
	v_addc_co_u32_e64 v13, s[20:21], 0, v39, s[20:21]
	v_cmp_ge_u64_e64 s[20:21], v[12:13], v[10:11]
	s_or_b64 s[90:91], s[90:91], exec
	s_orn2_b64 s[88:89], s[20:21], exec
.LBB4_56:                               ;   in Loop: Header=BB4_58 Depth=2
	s_or_b64 exec, exec, s[94:95]
	s_andn2_b64 s[20:21], s[76:77], exec
	s_and_b64 s[76:77], s[90:91], exec
	s_or_b64 s[76:77], s[20:21], s[76:77]
	s_andn2_b64 s[20:21], s[74:75], exec
	s_and_b64 s[74:75], s[88:89], exec
	s_or_b64 s[74:75], s[20:21], s[74:75]
.LBB4_57:                               ;   in Loop: Header=BB4_58 Depth=2
	s_or_b64 exec, exec, s[78:79]
	s_and_b64 s[20:21], exec, s[74:75]
	s_or_b64 s[26:27], s[20:21], s[26:27]
	s_andn2_b64 s[20:21], s[72:73], exec
	s_and_b64 s[72:73], s[76:77], exec
	s_or_b64 s[72:73], s[20:21], s[72:73]
	s_andn2_b64 exec, exec, s[26:27]
	s_cbranch_execz .LBB4_62
.LBB4_58:                               ;   Parent Loop BB4_49 Depth=1
                                        ; =>  This Inner Loop Header: Depth=2
	s_sleep 1
	s_waitcnt vmcnt(0) lgkmcnt(0)
	flat_load_dwordx2 v[38:39], v[32:33] glc
	s_or_b64 s[76:77], s[76:77], exec
	s_or_b64 s[74:75], s[74:75], exec
                                        ; implicit-def: $vgpr0
	s_and_saveexec_b64 s[78:79], vcc
	s_cbranch_execz .LBB4_57
; %bb.59:                               ;   in Loop: Header=BB4_58 Depth=2
	s_cmpk_lt_i32 s39, 0x270f
	s_cselect_b64 s[92:93], -1, 0
	s_cmpk_gt_i32 s39, 0x270e
	s_mov_b64 s[88:89], -1
	s_cbranch_scc0 .LBB4_61
; %bb.60:                               ;   in Loop: Header=BB4_58 Depth=2
	s_trap 2
	ds_read_b64 v[0:1], v0
	s_andn2_b64 s[92:93], s[92:93], exec
	s_mov_b32 s39, 0
	s_mov_b64 s[90:91], 0
	s_waitcnt vmcnt(0) lgkmcnt(0)
	flat_load_dword v0, v[0:1] glc
	s_waitcnt vmcnt(0) lgkmcnt(0)
	buffer_wbinvl1_vol
	v_cmp_eq_u32_e64 s[20:21], 0, v0
	s_and_b64 s[20:21], s[20:21], exec
	s_or_b64 s[92:93], s[92:93], s[20:21]
	s_and_saveexec_b64 s[94:95], s[92:93]
	s_cbranch_execz .LBB4_56
	s_branch .LBB4_55
.LBB4_61:                               ;   in Loop: Header=BB4_58 Depth=2
	s_add_i32 s39, s39, 1
	s_mov_b64 s[90:91], -1
                                        ; implicit-def: $vgpr0
	s_and_saveexec_b64 s[94:95], s[92:93]
	s_cbranch_execz .LBB4_56
	s_branch .LBB4_55
.LBB4_62:                               ;   in Loop: Header=BB4_49 Depth=1
	s_or_b64 exec, exec, s[26:27]
	s_xor_b64 s[20:21], s[72:73], -1
	s_and_saveexec_b64 s[26:27], s[20:21]
	s_xor_b64 s[20:21], exec, s[26:27]
	s_cbranch_execz .LBB4_64
; %bb.63:                               ;   in Loop: Header=BB4_49 Depth=1
	v_or_b32_e32 v60, 64, v60
	s_waitcnt lgkmcnt(0)
	ds_write_b32 v0, v0
	s_trap 2
.LBB4_64:                               ;   in Loop: Header=BB4_49 Depth=1
	s_or_b64 exec, exec, s[20:21]
.LBB4_65:                               ;   in Loop: Header=BB4_49 Depth=1
	s_or_b64 exec, exec, s[24:25]
	v_and_b32_e32 v0, 0x108, v60
	v_cmp_ne_u32_e32 vcc, s34, v0
	v_and_b32_e32 v0, 7, v8
	;;#ASMSTART
	s_wakeup
	;;#ASMEND
	s_and_saveexec_b64 s[20:21], vcc
	s_xor_b64 s[20:21], exec, s[20:21]
                                        ; implicit-def: $vgpr1
; %bb.66:                               ;   in Loop: Header=BB4_49 Depth=1
	v_mov_b32_e32 v1, v52
; %bb.67:                               ;   in Loop: Header=BB4_49 Depth=1
	s_andn2_saveexec_b64 s[20:21], s[20:21]
	s_cbranch_execz .LBB4_69
; %bb.68:                               ;   in Loop: Header=BB4_49 Depth=1
	v_mad_u64_u32 v[8:9], s[24:25], v0, 24, v[6:7]
	v_mov_b32_e32 v1, v52
	v_lshlrev_b32_e32 v12, 1, v30
	v_mov_b32_e32 v13, v52
	flat_store_dwordx2 v[8:9], v[12:13] offset:8
.LBB4_69:                               ;   in Loop: Header=BB4_49 Depth=1
	s_or_b64 exec, exec, s[20:21]
	v_and_b32_e32 v8, 0x100, v60
	v_cmp_ne_u32_e32 vcc, 0, v8
	s_mov_b64 s[20:21], -1
                                        ; implicit-def: $vgpr8_vgpr9
	s_and_saveexec_b64 s[24:25], vcc
	s_cbranch_execz .LBB4_73
; %bb.70:                               ;   in Loop: Header=BB4_49 Depth=1
	v_mad_u64_u32 v[12:13], s[20:21], v0, 24, v[6:7]
	v_mov_b32_e32 v8, v13
	v_mad_u64_u32 v[8:9], s[20:21], v1, 24, v[8:9]
	v_mov_b32_e32 v13, v8
	flat_load_dword v8, v[12:13]
	s_waitcnt vmcnt(0) lgkmcnt(0)
	v_cmp_ne_u32_e32 vcc, 1, v8
	v_cmp_eq_u32_e64 s[20:21], 1, v8
                                        ; implicit-def: $vgpr8_vgpr9
	s_and_saveexec_b64 s[26:27], s[20:21]
	s_cbranch_execz .LBB4_72
; %bb.71:                               ;   in Loop: Header=BB4_49 Depth=1
	flat_load_dword v8, v[12:13] offset:4 glc
	s_waitcnt vmcnt(0) lgkmcnt(0)
	v_ashrrev_i32_e32 v9, 31, v8
	v_lshrrev_b64 v[8:9], 1, v[8:9]
.LBB4_72:                               ;   in Loop: Header=BB4_49 Depth=1
	s_or_b64 exec, exec, s[26:27]
	s_orn2_b64 s[20:21], vcc, exec
.LBB4_73:                               ;   in Loop: Header=BB4_49 Depth=1
	s_or_b64 exec, exec, s[24:25]
	s_and_saveexec_b64 s[24:25], s[20:21]
	s_cbranch_execz .LBB4_75
; %bb.74:                               ;   in Loop: Header=BB4_49 Depth=1
	v_mul_lo_u32 v1, v1, v58
	v_mul_lo_u32 v12, v0, v27
	v_mad_u64_u32 v[8:9], s[20:21], v0, v58, 0
	v_add3_u32 v9, v9, v12, v1
.LBB4_75:                               ;   in Loop: Header=BB4_49 Depth=1
	s_or_b64 exec, exec, s[24:25]
	v_lshlrev_b64 v[0:1], 1, v[8:9]
	v_cmp_eq_u32_e32 vcc, 0, v14
	v_cndmask_b32_e32 v12, v26, v59, vcc
	v_add_co_u32_e32 v0, vcc, v34, v0
	v_addc_co_u32_e32 v1, vcc, v35, v1, vcc
	v_add_u32_e32 v8, v0, v12
	ds_write_b64 v8, v[0:1] offset:584
	v_and_b32_e32 v0, 0x2000, v60
	v_cmp_ne_u32_e32 vcc, 0, v0
	s_and_saveexec_b64 s[20:21], vcc
	s_cbranch_execz .LBB4_77
; %bb.76:                               ;   in Loop: Header=BB4_49 Depth=1
	ds_read_b64 v[0:1], v0 offset:872
	s_waitcnt lgkmcnt(0)
	v_add_co_u32_e32 v0, vcc, 1, v0
	v_addc_co_u32_e32 v1, vcc, 0, v1, vcc
	ds_write_b64 v0, v[0:1] offset:872
.LBB4_77:                               ;   in Loop: Header=BB4_49 Depth=1
	s_or_b64 exec, exec, s[20:21]
	v_mov_b32_e32 v8, v10
	v_mov_b32_e32 v9, v11
.LBB4_78:                               ;   in Loop: Header=BB4_49 Depth=1
	s_or_b64 exec, exec, s[22:23]
	s_and_saveexec_b64 s[20:21], s[10:11]
	s_cbranch_execz .LBB4_97
; %bb.79:                               ;   in Loop: Header=BB4_49 Depth=1
	s_and_saveexec_b64 s[22:23], s[46:47]
	s_xor_b64 s[22:23], exec, s[22:23]
	s_cbranch_execz .LBB4_94
; %bb.80:                               ;   in Loop: Header=BB4_49 Depth=1
	s_and_saveexec_b64 s[24:25], s[12:13]
	s_cbranch_execz .LBB4_93
; %bb.81:                               ;   in Loop: Header=BB4_49 Depth=1
	s_mov_b64 s[72:73], exec
	v_mbcnt_lo_u32_b32 v0, s72, 0
	v_mbcnt_hi_u32_b32 v0, s73, v0
	v_cmp_eq_u32_e32 vcc, 0, v0
	s_waitcnt vmcnt(0) lgkmcnt(0)
	buffer_wbinvl1_vol
	s_and_saveexec_b64 s[26:27], vcc
	s_cbranch_execz .LBB4_83
; %bb.82:                               ;   in Loop: Header=BB4_49 Depth=1
	s_bcnt1_i32_b64 s72, s[72:73]
	v_mov_b32_e32 v0, s72
	v_mov_b32_e32 v1, v52
	ds_add_u64 v0, v[0:1]
	s_trap 2
.LBB4_83:                               ;   in Loop: Header=BB4_49 Depth=1
	s_or_b64 exec, exec, s[26:27]
	s_trap 2
	ds_read_b64 v[0:1], v0
	s_waitcnt lgkmcnt(0)
	v_add_co_u32_e32 v36, vcc, v36, v62
	v_addc_co_u32_e32 v37, vcc, 0, v37, vcc
	v_cmp_lt_u64_e32 vcc, v[0:1], v[36:37]
	s_and_saveexec_b64 s[26:27], vcc
	s_cbranch_execz .LBB4_92
; %bb.84:                               ;   in Loop: Header=BB4_49 Depth=1
	s_mov_b32 s92, 0
	s_mov_b64 s[72:73], 0
                                        ; implicit-def: $sgpr74_sgpr75
                                        ; implicit-def: $sgpr76_sgpr77
	s_branch .LBB4_86
.LBB4_85:                               ;   in Loop: Header=BB4_86 Depth=2
	s_or_b64 exec, exec, s[88:89]
	s_and_b64 s[78:79], exec, s[90:91]
	s_or_b64 s[72:73], s[78:79], s[72:73]
	s_andn2_b64 s[74:75], s[74:75], exec
	s_and_b64 s[78:79], s[76:77], exec
	s_or_b64 s[74:75], s[74:75], s[78:79]
	s_andn2_b64 exec, exec, s[72:73]
	s_cbranch_execz .LBB4_90
.LBB4_86:                               ;   Parent Loop BB4_49 Depth=1
                                        ; =>  This Inner Loop Header: Depth=2
	s_add_i32 s92, s92, 1
	s_cmpk_lg_i32 s92, 0x2710
	s_cselect_b64 s[78:79], -1, 0
	s_and_b64 vcc, exec, s[78:79]
	s_cbranch_vccz .LBB4_88
; %bb.87:                               ;   in Loop: Header=BB4_86 Depth=2
	s_mov_b64 s[90:91], -1
	s_or_b64 s[76:77], s[76:77], exec
	s_and_saveexec_b64 s[88:89], s[78:79]
	s_cbranch_execz .LBB4_85
	s_branch .LBB4_89
.LBB4_88:                               ;   in Loop: Header=BB4_86 Depth=2
	s_trap 2
	ds_read_b64 v[0:1], v0
	s_andn2_b64 s[78:79], s[78:79], exec
	s_mov_b32 s92, 0
	s_waitcnt lgkmcnt(0)
	flat_load_dword v0, v[0:1] glc
	s_waitcnt vmcnt(0) lgkmcnt(0)
	buffer_wbinvl1_vol
	v_cmp_eq_u32_e32 vcc, 0, v0
	s_and_b64 s[88:89], vcc, exec
	s_or_b64 s[78:79], s[78:79], s[88:89]
	s_mov_b64 s[90:91], -1
	s_or_b64 s[76:77], s[76:77], exec
	s_and_saveexec_b64 s[88:89], s[78:79]
	s_cbranch_execz .LBB4_85
.LBB4_89:                               ;   in Loop: Header=BB4_86 Depth=2
	s_sleep 1
	s_trap 2
	ds_read_b64 v[0:1], v0
	s_waitcnt lgkmcnt(0)
	s_andn2_b64 s[76:77], s[76:77], exec
	v_cmp_ge_u64_e32 vcc, v[0:1], v[36:37]
	s_orn2_b64 s[90:91], vcc, exec
	s_branch .LBB4_85
.LBB4_90:                               ;   in Loop: Header=BB4_49 Depth=1
	s_or_b64 exec, exec, s[72:73]
	s_and_saveexec_b64 s[72:73], s[74:75]
	s_xor_b64 s[72:73], exec, s[72:73]
	s_cbranch_execz .LBB4_92
; %bb.91:                               ;   in Loop: Header=BB4_49 Depth=1
	ds_write_b32 v0, v51
	s_trap 2
.LBB4_92:                               ;   in Loop: Header=BB4_49 Depth=1
	s_or_b64 exec, exec, s[26:27]
	;;#ASMSTART
	s_wakeup
	;;#ASMEND
.LBB4_93:                               ;   in Loop: Header=BB4_49 Depth=1
	s_or_b64 exec, exec, s[24:25]
.LBB4_94:                               ;   in Loop: Header=BB4_49 Depth=1
	s_andn2_saveexec_b64 s[22:23], s[22:23]
	s_cbranch_execz .LBB4_96
; %bb.95:                               ;   in Loop: Header=BB4_49 Depth=1
	s_waitcnt vmcnt(0) lgkmcnt(0)
	buffer_wbinvl1_vol
	s_barrier
.LBB4_96:                               ;   in Loop: Header=BB4_49 Depth=1
	s_or_b64 exec, exec, s[22:23]
.LBB4_97:                               ;   in Loop: Header=BB4_49 Depth=1
	s_or_b64 exec, exec, s[20:21]
	s_trap 2
	ds_read_b32 v10, v0
	v_and_b32_e32 v0, 0x4000, v60
	v_cmp_ne_u32_e32 vcc, 0, v0
	s_and_b64 s[22:23], s[58:59], vcc
	s_and_saveexec_b64 s[20:21], s[22:23]
	s_cbranch_execz .LBB4_116
; %bb.98:                               ;   in Loop: Header=BB4_49 Depth=1
	s_and_saveexec_b64 s[22:23], s[46:47]
	s_xor_b64 s[22:23], exec, s[22:23]
	s_cbranch_execz .LBB4_113
; %bb.99:                               ;   in Loop: Header=BB4_49 Depth=1
	s_and_saveexec_b64 s[24:25], s[12:13]
	s_cbranch_execz .LBB4_112
; %bb.100:                              ;   in Loop: Header=BB4_49 Depth=1
	s_mov_b64 s[72:73], exec
	v_mbcnt_lo_u32_b32 v0, s72, 0
	v_mbcnt_hi_u32_b32 v0, s73, v0
	v_cmp_eq_u32_e32 vcc, 0, v0
	s_waitcnt vmcnt(0) lgkmcnt(0)
	buffer_wbinvl1_vol
	s_and_saveexec_b64 s[26:27], vcc
	s_cbranch_execz .LBB4_102
; %bb.101:                              ;   in Loop: Header=BB4_49 Depth=1
	s_bcnt1_i32_b64 s72, s[72:73]
	v_mov_b32_e32 v0, s72
	v_mov_b32_e32 v1, v52
	ds_add_u64 v0, v[0:1]
	s_trap 2
.LBB4_102:                              ;   in Loop: Header=BB4_49 Depth=1
	s_or_b64 exec, exec, s[26:27]
	s_trap 2
	ds_read_b64 v[0:1], v0
	s_waitcnt lgkmcnt(0)
	v_add_co_u32_e32 v36, vcc, v36, v62
	v_addc_co_u32_e32 v37, vcc, 0, v37, vcc
	v_cmp_lt_u64_e32 vcc, v[0:1], v[36:37]
	s_and_saveexec_b64 s[26:27], vcc
	s_cbranch_execz .LBB4_111
; %bb.103:                              ;   in Loop: Header=BB4_49 Depth=1
	s_mov_b32 s92, 0
	s_mov_b64 s[72:73], 0
                                        ; implicit-def: $sgpr74_sgpr75
                                        ; implicit-def: $sgpr76_sgpr77
	s_branch .LBB4_105
.LBB4_104:                              ;   in Loop: Header=BB4_105 Depth=2
	s_or_b64 exec, exec, s[88:89]
	s_and_b64 s[78:79], exec, s[90:91]
	s_or_b64 s[72:73], s[78:79], s[72:73]
	s_andn2_b64 s[74:75], s[74:75], exec
	s_and_b64 s[78:79], s[76:77], exec
	s_or_b64 s[74:75], s[74:75], s[78:79]
	s_andn2_b64 exec, exec, s[72:73]
	s_cbranch_execz .LBB4_109
.LBB4_105:                              ;   Parent Loop BB4_49 Depth=1
                                        ; =>  This Inner Loop Header: Depth=2
	s_add_i32 s92, s92, 1
	s_cmpk_lg_i32 s92, 0x2710
	s_cselect_b64 s[78:79], -1, 0
	s_and_b64 vcc, exec, s[78:79]
	s_cbranch_vccz .LBB4_107
; %bb.106:                              ;   in Loop: Header=BB4_105 Depth=2
	s_mov_b64 s[90:91], -1
	s_or_b64 s[76:77], s[76:77], exec
	s_and_saveexec_b64 s[88:89], s[78:79]
	s_cbranch_execz .LBB4_104
	s_branch .LBB4_108
.LBB4_107:                              ;   in Loop: Header=BB4_105 Depth=2
	s_trap 2
	ds_read_b64 v[0:1], v0
	s_andn2_b64 s[78:79], s[78:79], exec
	s_mov_b32 s92, 0
	s_waitcnt lgkmcnt(0)
	flat_load_dword v0, v[0:1] glc
	s_waitcnt vmcnt(0) lgkmcnt(0)
	buffer_wbinvl1_vol
	v_cmp_eq_u32_e32 vcc, 0, v0
	s_and_b64 s[88:89], vcc, exec
	s_or_b64 s[78:79], s[78:79], s[88:89]
	s_mov_b64 s[90:91], -1
	s_or_b64 s[76:77], s[76:77], exec
	s_and_saveexec_b64 s[88:89], s[78:79]
	s_cbranch_execz .LBB4_104
.LBB4_108:                              ;   in Loop: Header=BB4_105 Depth=2
	s_sleep 1
	s_trap 2
	ds_read_b64 v[0:1], v0
	s_waitcnt lgkmcnt(0)
	s_andn2_b64 s[76:77], s[76:77], exec
	v_cmp_ge_u64_e32 vcc, v[0:1], v[36:37]
	s_orn2_b64 s[90:91], vcc, exec
	s_branch .LBB4_104
.LBB4_109:                              ;   in Loop: Header=BB4_49 Depth=1
	s_or_b64 exec, exec, s[72:73]
	s_and_saveexec_b64 s[72:73], s[74:75]
	s_xor_b64 s[72:73], exec, s[72:73]
	s_cbranch_execz .LBB4_111
; %bb.110:                              ;   in Loop: Header=BB4_49 Depth=1
	ds_write_b32 v0, v51
	s_trap 2
.LBB4_111:                              ;   in Loop: Header=BB4_49 Depth=1
	s_or_b64 exec, exec, s[26:27]
	;;#ASMSTART
	s_wakeup
	;;#ASMEND
.LBB4_112:                              ;   in Loop: Header=BB4_49 Depth=1
	s_or_b64 exec, exec, s[24:25]
.LBB4_113:                              ;   in Loop: Header=BB4_49 Depth=1
	s_andn2_saveexec_b64 s[22:23], s[22:23]
	s_cbranch_execz .LBB4_115
; %bb.114:                              ;   in Loop: Header=BB4_49 Depth=1
	s_waitcnt vmcnt(0) lgkmcnt(0)
	buffer_wbinvl1_vol
	s_barrier
.LBB4_115:                              ;   in Loop: Header=BB4_49 Depth=1
	s_or_b64 exec, exec, s[22:23]
.LBB4_116:                              ;   in Loop: Header=BB4_49 Depth=1
	s_or_b64 exec, exec, s[20:21]
	s_trap 2
	ds_read_b64 v[41:42], v0
	s_waitcnt lgkmcnt(0)
	v_cmp_eq_u64_e32 vcc, 0, v[41:42]
	s_cbranch_vccnz .LBB4_124
; %bb.117:                              ;   in Loop: Header=BB4_49 Depth=1
	s_trap 2
	ds_read_b64 v[43:44], v0
	s_waitcnt lgkmcnt(0)
	v_cmp_eq_u64_e32 vcc, 0, v[43:44]
	s_cbranch_vccnz .LBB4_124
; %bb.118:                              ;   in Loop: Header=BB4_49 Depth=1
	s_trap 2
	ds_read_b64 v[0:1], v0
	s_mov_b64 s[22:23], -1
	s_waitcnt lgkmcnt(0)
	v_readfirstlane_b32 s94, v0
	s_and_saveexec_b64 s[20:21], s[14:15]
	s_cbranch_execz .LBB4_120
; %bb.119:                              ;   in Loop: Header=BB4_49 Depth=1
	ds_read_b32 v0, v0 offset:720
	s_waitcnt lgkmcnt(0)
	v_and_b32_e32 v0, 15, v0
	v_cmp_eq_u32_e32 vcc, 0, v0
	s_orn2_b64 s[22:23], vcc, exec
.LBB4_120:                              ;   in Loop: Header=BB4_49 Depth=1
	s_or_b64 exec, exec, s[20:21]
	s_and_saveexec_b64 s[20:21], s[16:17]
	s_cbranch_execz .LBB4_122
; %bb.121:                              ;   in Loop: Header=BB4_49 Depth=1
	ds_read_b32 v0, v0 offset:784
	s_waitcnt lgkmcnt(0)
	v_and_b32_e32 v0, 15, v0
	v_cmp_eq_u32_e32 vcc, 0, v0
	s_and_b64 s[24:25], s[22:23], vcc
	s_andn2_b64 s[22:23], s[22:23], exec
	s_and_b64 s[24:25], s[24:25], exec
	s_or_b64 s[22:23], s[22:23], s[24:25]
.LBB4_122:                              ;   in Loop: Header=BB4_49 Depth=1
	s_or_b64 exec, exec, s[20:21]
	v_cmp_eq_u32_e32 vcc, 0, v10
	s_xor_b64 s[22:23], s[22:23], -1
	v_cndmask_b32_e32 v53, 0, v30, vcc
	v_cndmask_b32_e64 v0, 0, 1, s[22:23]
	v_lshlrev_b32_e32 v28, 1, v53
	s_mov_b64 s[20:21], -1
	v_cmp_ne_u32_e32 vcc, 0, v0
	v_mov_b32_e32 v16, 0
	s_cbranch_vccz .LBB4_125
; %bb.123:                              ;   in Loop: Header=BB4_49 Depth=1
	s_waitcnt vmcnt(0)
	v_mov_b32_e32 v17, v56
	s_and_saveexec_b64 s[72:73], s[20:21]
	s_cbranch_execnz .LBB4_392
	s_branch .LBB4_504
.LBB4_124:                              ;   in Loop: Header=BB4_49 Depth=1
	s_mov_b64 s[20:21], 0
	s_and_saveexec_b64 s[22:23], s[10:11]
	s_cbranch_execnz .LBB4_505
	s_branch .LBB4_523
.LBB4_125:                              ;   in Loop: Header=BB4_49 Depth=1
	v_lshrrev_b32_e32 v0, 10, v53
	s_waitcnt vmcnt(0)
	v_sub_u32_e32 v29, v0, v50
	v_cmp_lt_i32_e32 vcc, 0, v29
	s_and_saveexec_b64 s[72:73], vcc
	s_cbranch_execz .LBB4_321
; %bb.126:                              ;   in Loop: Header=BB4_49 Depth=1
	s_trap 2
	buffer_load_dword v10, off, s[0:3], s33 offset:124 ; 4-byte Folded Reload
	ds_read_b64 v[0:1], v0
	s_bitcmp1_b32 s94, 0
	s_mov_b64 s[74:75], 0
	s_cselect_b64 s[76:77], -1, 0
	s_waitcnt vmcnt(0)
	v_add_co_u32_e32 v45, vcc, v41, v10
	v_addc_co_u32_e32 v46, vcc, 0, v42, vcc
	s_waitcnt lgkmcnt(0)
	v_add_co_u32_e32 v56, vcc, v0, v10
	v_addc_co_u32_e32 v57, vcc, 0, v1, vcc
	v_add_co_u32_e32 v58, vcc, v43, v10
	v_addc_co_u32_e32 v59, vcc, 0, v44, vcc
	s_branch .LBB4_130
.LBB4_127:                              ;   in Loop: Header=BB4_130 Depth=2
	s_or_b64 exec, exec, s[24:25]
	v_mov_b32_e32 v26, v0
.LBB4_128:                              ;   in Loop: Header=BB4_130 Depth=2
	s_or_b64 exec, exec, s[78:79]
	v_mov_b32_e32 v17, v26
.LBB4_129:                              ;   in Loop: Header=BB4_130 Depth=2
	v_lshlrev_b32_e32 v0, 16, v19
	v_and_b32_e32 v1, 0xffff, v22
	v_lshlrev_b32_e32 v13, 16, v18
	v_and_b32_e32 v18, 0xffff, v61
	v_or_b32_e32 v13, v13, v18
	v_or3_b32 v19, v0, v1, 0
	v_lshlrev_b32_e32 v0, 16, v20
	v_and_b32_e32 v1, 0xffff, v23
	v_add_co_u32_e32 v45, vcc, v45, v3
	v_or3_b32 v18, 0, 0, v13
	v_or_b32_e32 v0, v0, v1
	v_lshlrev_b32_e32 v1, 16, v21
	v_and_b32_e32 v13, 0xffff, v24
	v_addc_co_u32_e32 v46, vcc, 0, v46, vcc
	v_or3_b32 v21, v1, v13, 0
	v_or3_b32 v20, 0, 0, v0
	v_lshlrev_b32_e32 v0, 16, v11
	v_and_b32_e32 v1, 0xffff, v14
	v_lshlrev_b32_e32 v10, 16, v10
	v_and_b32_e32 v11, 0xffff, v25
	v_add_co_u32_e32 v56, vcc, v56, v3
	v_or_b32_e32 v10, v10, v11
	v_or3_b32 v11, v0, v1, 0
	v_lshlrev_b32_e32 v0, 16, v12
	v_and_b32_e32 v1, 0xffff, v15
	v_addc_co_u32_e32 v57, vcc, 0, v57, vcc
	v_sub_u32_e32 v29, v29, v62
	v_or_b32_e32 v0, v0, v1
	v_lshlrev_b32_e32 v1, 16, v17
	v_and_b32_e32 v12, 0xffff, v16
	v_cmp_gt_i32_e32 vcc, 1, v29
	v_or3_b32 v10, 0, 0, v10
	v_or3_b32 v13, v1, v12, 0
	;; [unrolled: 1-line block ×3, first 2 shown]
	global_store_dwordx4 v[58:59], v[18:21], off glc slc
	global_store_dwordx4 v[58:59], v[10:13], off offset:1024 glc slc
	s_or_b64 s[74:75], vcc, s[74:75]
	v_add_co_u32_e32 v58, vcc, v58, v3
	v_addc_co_u32_e32 v59, vcc, 0, v59, vcc
	s_andn2_b64 exec, exec, s[74:75]
	s_cbranch_execz .LBB4_320
.LBB4_130:                              ;   Parent Loop BB4_49 Depth=1
                                        ; =>  This Inner Loop Header: Depth=2
	global_load_dwordx4 v[18:21], v[45:46], off glc slc
	global_load_dwordx4 v[10:13], v[45:46], off offset:1024 glc slc
	global_load_dwordx4 v[22:25], v[56:57], off glc slc
	global_load_dwordx4 v[14:17], v[56:57], off offset:1024 glc slc
	s_mov_b64 s[24:25], -1
	s_and_b64 vcc, exec, s[76:77]
                                        ; implicit-def: $vgpr61
	s_waitcnt vmcnt(3)
	v_and_b32_e32 v0, 0x7fff, v18
	v_cmp_lt_u16_e64 s[20:21], s35, v0
	s_waitcnt vmcnt(1)
	v_and_b32_e32 v26, 0x7fff, v22
	v_cmp_gt_u16_e64 s[22:23], s36, v26
	s_and_b64 s[26:27], s[20:21], s[22:23]
	s_xor_b64 s[26:27], s[26:27], -1
	s_cbranch_vccz .LBB4_136
; %bb.131:                              ;   in Loop: Header=BB4_130 Depth=2
	v_mov_b32_e32 v61, v22
	s_and_saveexec_b64 s[78:79], s[26:27]
	s_cbranch_execz .LBB4_135
; %bb.132:                              ;   in Loop: Header=BB4_130 Depth=2
	s_or_b64 s[24:25], s[20:21], s[22:23]
	v_mov_b32_e32 v61, v18
	s_and_saveexec_b64 s[88:89], s[24:25]
; %bb.133:                              ;   in Loop: Header=BB4_130 Depth=2
	v_cmp_lt_u16_e32 vcc, s35, v26
	v_cmp_gt_f16_e64 s[24:25], v18, v22
	v_cndmask_b32_e64 v0, v22, v18, s[24:25]
	s_and_b64 vcc, s[20:21], vcc
	v_cndmask_b32_e32 v61, v0, v31, vcc
; %bb.134:                              ;   in Loop: Header=BB4_130 Depth=2
	s_or_b64 exec, exec, s[88:89]
.LBB4_135:                              ;   in Loop: Header=BB4_130 Depth=2
	s_or_b64 exec, exec, s[78:79]
	s_mov_b64 s[24:25], 0
.LBB4_136:                              ;   in Loop: Header=BB4_130 Depth=2
	s_andn2_b64 vcc, exec, s[24:25]
	s_cbranch_vccnz .LBB4_142
; %bb.137:                              ;   in Loop: Header=BB4_130 Depth=2
	v_mov_b32_e32 v61, v22
	s_and_saveexec_b64 s[24:25], s[26:27]
	s_cbranch_execz .LBB4_141
; %bb.138:                              ;   in Loop: Header=BB4_130 Depth=2
	s_or_b64 s[22:23], s[20:21], s[22:23]
	v_mov_b32_e32 v61, v18
	s_and_saveexec_b64 s[26:27], s[22:23]
; %bb.139:                              ;   in Loop: Header=BB4_130 Depth=2
	v_cmp_lt_u16_e32 vcc, s35, v26
	v_cmp_gt_f16_e64 s[22:23], v18, v22
	v_cndmask_b32_e64 v0, v18, v22, s[22:23]
	s_and_b64 vcc, s[20:21], vcc
	v_cndmask_b32_e32 v61, v0, v31, vcc
; %bb.140:                              ;   in Loop: Header=BB4_130 Depth=2
	s_or_b64 exec, exec, s[26:27]
.LBB4_141:                              ;   in Loop: Header=BB4_130 Depth=2
	s_or_b64 exec, exec, s[24:25]
.LBB4_142:                              ;   in Loop: Header=BB4_130 Depth=2
	v_perm_b32 v0, v22, v18, s37
	v_lshrrev_b32_e32 v22, 16, v22
	v_lshrrev_b32_e32 v1, 16, v18
	v_and_b32_e32 v18, 0x7fff, v1
	v_and_b32_e32 v26, 0x7fff, v22
	v_cmp_lt_u16_e64 s[20:21], s35, v18
	v_cmp_gt_u16_e64 s[22:23], s36, v26
	s_and_b64 s[26:27], s[20:21], s[22:23]
	s_mov_b64 s[24:25], -1
	s_xor_b64 s[26:27], s[26:27], -1
	s_and_b64 vcc, exec, s[76:77]
                                        ; implicit-def: $vgpr18
	s_cbranch_vccz .LBB4_148
; %bb.143:                              ;   in Loop: Header=BB4_130 Depth=2
	v_mov_b32_e32 v18, v22
	s_and_saveexec_b64 s[78:79], s[26:27]
	s_cbranch_execz .LBB4_147
; %bb.144:                              ;   in Loop: Header=BB4_130 Depth=2
	s_or_b64 s[24:25], s[20:21], s[22:23]
	v_mov_b32_e32 v18, v1
	s_and_saveexec_b64 s[88:89], s[24:25]
; %bb.145:                              ;   in Loop: Header=BB4_130 Depth=2
	v_lshrrev_b32_e32 v18, 16, v0
	v_cmp_lt_u16_e32 vcc, s35, v26
	v_cmp_gt_f16_e64 s[24:25], v0, v18
	v_cndmask_b32_e64 v18, v18, v0, s[24:25]
	s_and_b64 vcc, s[20:21], vcc
	v_cndmask_b32_e32 v18, v18, v31, vcc
; %bb.146:                              ;   in Loop: Header=BB4_130 Depth=2
	s_or_b64 exec, exec, s[88:89]
.LBB4_147:                              ;   in Loop: Header=BB4_130 Depth=2
	s_or_b64 exec, exec, s[78:79]
	s_mov_b64 s[24:25], 0
.LBB4_148:                              ;   in Loop: Header=BB4_130 Depth=2
	s_andn2_b64 vcc, exec, s[24:25]
	s_cbranch_vccnz .LBB4_154
; %bb.149:                              ;   in Loop: Header=BB4_130 Depth=2
	s_and_saveexec_b64 s[24:25], s[26:27]
	s_cbranch_execz .LBB4_153
; %bb.150:                              ;   in Loop: Header=BB4_130 Depth=2
	s_or_b64 s[22:23], s[20:21], s[22:23]
	s_and_saveexec_b64 s[26:27], s[22:23]
; %bb.151:                              ;   in Loop: Header=BB4_130 Depth=2
	v_lshrrev_b32_e32 v1, 16, v0
	v_cmp_lt_u16_e32 vcc, s35, v26
	v_cmp_gt_f16_e64 s[22:23], v0, v1
	v_cndmask_b32_e64 v0, v0, v1, s[22:23]
	s_and_b64 vcc, s[20:21], vcc
	v_cndmask_b32_e32 v1, v0, v31, vcc
; %bb.152:                              ;   in Loop: Header=BB4_130 Depth=2
	s_or_b64 exec, exec, s[26:27]
	v_mov_b32_e32 v22, v1
.LBB4_153:                              ;   in Loop: Header=BB4_130 Depth=2
	s_or_b64 exec, exec, s[24:25]
	v_mov_b32_e32 v18, v22
.LBB4_154:                              ;   in Loop: Header=BB4_130 Depth=2
	v_and_b32_e32 v1, 0x7fff, v19
	v_cmp_lt_u16_e64 s[20:21], s35, v1
	v_and_b32_e32 v1, 0x7fff, v23
	v_cmp_gt_u16_e64 s[22:23], s36, v1
	s_and_b64 s[26:27], s[20:21], s[22:23]
	v_perm_b32 v0, v23, v19, s38
	s_mov_b64 s[24:25], -1
	s_xor_b64 s[26:27], s[26:27], -1
	s_and_b64 vcc, exec, s[76:77]
                                        ; implicit-def: $vgpr22
	s_cbranch_vccz .LBB4_160
; %bb.155:                              ;   in Loop: Header=BB4_130 Depth=2
	v_mov_b32_e32 v22, v23
	s_and_saveexec_b64 s[78:79], s[26:27]
	s_cbranch_execz .LBB4_159
; %bb.156:                              ;   in Loop: Header=BB4_130 Depth=2
	s_or_b64 s[24:25], s[20:21], s[22:23]
	v_mov_b32_e32 v22, v19
	s_and_saveexec_b64 s[88:89], s[24:25]
; %bb.157:                              ;   in Loop: Header=BB4_130 Depth=2
	v_lshrrev_b32_e32 v22, 16, v0
	v_cmp_lt_u16_e32 vcc, s35, v1
	v_cmp_gt_f16_e64 s[24:25], v0, v22
	v_cndmask_b32_e64 v22, v22, v0, s[24:25]
	s_and_b64 vcc, s[20:21], vcc
	v_cndmask_b32_e32 v22, v22, v31, vcc
; %bb.158:                              ;   in Loop: Header=BB4_130 Depth=2
	s_or_b64 exec, exec, s[88:89]
.LBB4_159:                              ;   in Loop: Header=BB4_130 Depth=2
	s_or_b64 exec, exec, s[78:79]
	s_mov_b64 s[24:25], 0
.LBB4_160:                              ;   in Loop: Header=BB4_130 Depth=2
	s_andn2_b64 vcc, exec, s[24:25]
	s_cbranch_vccnz .LBB4_166
; %bb.161:                              ;   in Loop: Header=BB4_130 Depth=2
	v_mov_b32_e32 v22, v23
	s_and_saveexec_b64 s[24:25], s[26:27]
	s_cbranch_execz .LBB4_165
; %bb.162:                              ;   in Loop: Header=BB4_130 Depth=2
	s_or_b64 s[22:23], s[20:21], s[22:23]
	v_mov_b32_e32 v22, v19
	s_and_saveexec_b64 s[26:27], s[22:23]
; %bb.163:                              ;   in Loop: Header=BB4_130 Depth=2
	v_cmp_lt_u16_e32 vcc, s35, v1
	v_lshrrev_b32_e32 v1, 16, v0
	v_cmp_gt_f16_e64 s[22:23], v0, v1
	v_cndmask_b32_e64 v0, v0, v1, s[22:23]
	s_and_b64 vcc, s[20:21], vcc
	v_cndmask_b32_e32 v22, v0, v31, vcc
; %bb.164:                              ;   in Loop: Header=BB4_130 Depth=2
	s_or_b64 exec, exec, s[26:27]
.LBB4_165:                              ;   in Loop: Header=BB4_130 Depth=2
	s_or_b64 exec, exec, s[24:25]
.LBB4_166:                              ;   in Loop: Header=BB4_130 Depth=2
	v_lshrrev_b32_e32 v0, 16, v19
	v_lshrrev_b32_e32 v26, 16, v23
	v_perm_b32 v1, v23, v19, s37
	v_and_b32_e32 v19, 0x7fff, v0
	v_and_b32_e32 v23, 0x7fff, v26
	v_cmp_lt_u16_e64 s[20:21], s35, v19
	v_cmp_gt_u16_e64 s[22:23], s36, v23
	s_and_b64 s[26:27], s[20:21], s[22:23]
	s_mov_b64 s[24:25], -1
	s_xor_b64 s[26:27], s[26:27], -1
	s_and_b64 vcc, exec, s[76:77]
                                        ; implicit-def: $vgpr19
	s_cbranch_vccz .LBB4_172
; %bb.167:                              ;   in Loop: Header=BB4_130 Depth=2
	v_mov_b32_e32 v19, v26
	s_and_saveexec_b64 s[78:79], s[26:27]
	s_cbranch_execz .LBB4_171
; %bb.168:                              ;   in Loop: Header=BB4_130 Depth=2
	s_or_b64 s[24:25], s[20:21], s[22:23]
	v_mov_b32_e32 v19, v0
	s_and_saveexec_b64 s[88:89], s[24:25]
; %bb.169:                              ;   in Loop: Header=BB4_130 Depth=2
	v_lshrrev_b32_e32 v19, 16, v1
	v_cmp_lt_u16_e32 vcc, s35, v23
	v_cmp_gt_f16_e64 s[24:25], v1, v19
	v_cndmask_b32_e64 v19, v19, v1, s[24:25]
	s_and_b64 vcc, s[20:21], vcc
	v_cndmask_b32_e32 v19, v19, v31, vcc
; %bb.170:                              ;   in Loop: Header=BB4_130 Depth=2
	s_or_b64 exec, exec, s[88:89]
.LBB4_171:                              ;   in Loop: Header=BB4_130 Depth=2
	s_or_b64 exec, exec, s[78:79]
	s_mov_b64 s[24:25], 0
.LBB4_172:                              ;   in Loop: Header=BB4_130 Depth=2
	s_andn2_b64 vcc, exec, s[24:25]
	s_cbranch_vccnz .LBB4_178
; %bb.173:                              ;   in Loop: Header=BB4_130 Depth=2
	s_and_saveexec_b64 s[24:25], s[26:27]
	s_cbranch_execz .LBB4_177
; %bb.174:                              ;   in Loop: Header=BB4_130 Depth=2
	s_or_b64 s[22:23], s[20:21], s[22:23]
	s_and_saveexec_b64 s[26:27], s[22:23]
; %bb.175:                              ;   in Loop: Header=BB4_130 Depth=2
	v_lshrrev_b32_e32 v0, 16, v1
	v_cmp_lt_u16_e32 vcc, s35, v23
	v_cmp_gt_f16_e64 s[22:23], v1, v0
	v_cndmask_b32_e64 v0, v1, v0, s[22:23]
	s_and_b64 vcc, s[20:21], vcc
	v_cndmask_b32_e32 v0, v0, v31, vcc
; %bb.176:                              ;   in Loop: Header=BB4_130 Depth=2
	s_or_b64 exec, exec, s[26:27]
	v_mov_b32_e32 v26, v0
.LBB4_177:                              ;   in Loop: Header=BB4_130 Depth=2
	s_or_b64 exec, exec, s[24:25]
	v_mov_b32_e32 v19, v26
.LBB4_178:                              ;   in Loop: Header=BB4_130 Depth=2
	v_and_b32_e32 v0, 0x7fff, v20
	v_cmp_lt_u16_e64 s[20:21], s35, v0
	v_and_b32_e32 v0, 0x7fff, v24
	v_cmp_gt_u16_e64 s[22:23], s36, v0
	s_and_b64 s[26:27], s[20:21], s[22:23]
	s_mov_b64 s[24:25], -1
	s_xor_b64 s[26:27], s[26:27], -1
	s_and_b64 vcc, exec, s[76:77]
                                        ; implicit-def: $vgpr23
	s_cbranch_vccz .LBB4_184
; %bb.179:                              ;   in Loop: Header=BB4_130 Depth=2
	v_mov_b32_e32 v23, v24
	s_and_saveexec_b64 s[78:79], s[26:27]
	s_cbranch_execz .LBB4_183
; %bb.180:                              ;   in Loop: Header=BB4_130 Depth=2
	s_or_b64 s[24:25], s[20:21], s[22:23]
	v_mov_b32_e32 v23, v20
	s_and_saveexec_b64 s[88:89], s[24:25]
; %bb.181:                              ;   in Loop: Header=BB4_130 Depth=2
	v_cmp_lt_u16_e32 vcc, s35, v0
	v_cmp_gt_f16_e64 s[24:25], v20, v24
	v_cndmask_b32_e64 v1, v24, v20, s[24:25]
	s_and_b64 vcc, s[20:21], vcc
	v_cndmask_b32_e32 v23, v1, v31, vcc
; %bb.182:                              ;   in Loop: Header=BB4_130 Depth=2
	s_or_b64 exec, exec, s[88:89]
.LBB4_183:                              ;   in Loop: Header=BB4_130 Depth=2
	s_or_b64 exec, exec, s[78:79]
	s_mov_b64 s[24:25], 0
.LBB4_184:                              ;   in Loop: Header=BB4_130 Depth=2
	s_andn2_b64 vcc, exec, s[24:25]
	s_cbranch_vccnz .LBB4_190
; %bb.185:                              ;   in Loop: Header=BB4_130 Depth=2
	v_mov_b32_e32 v23, v24
	s_and_saveexec_b64 s[24:25], s[26:27]
	s_cbranch_execz .LBB4_189
; %bb.186:                              ;   in Loop: Header=BB4_130 Depth=2
	s_or_b64 s[22:23], s[20:21], s[22:23]
	v_mov_b32_e32 v23, v20
	s_and_saveexec_b64 s[26:27], s[22:23]
; %bb.187:                              ;   in Loop: Header=BB4_130 Depth=2
	v_cmp_lt_u16_e32 vcc, s35, v0
	v_cmp_gt_f16_e64 s[22:23], v20, v24
	v_cndmask_b32_e64 v0, v20, v24, s[22:23]
	s_and_b64 vcc, s[20:21], vcc
	v_cndmask_b32_e32 v23, v0, v31, vcc
; %bb.188:                              ;   in Loop: Header=BB4_130 Depth=2
	s_or_b64 exec, exec, s[26:27]
.LBB4_189:                              ;   in Loop: Header=BB4_130 Depth=2
	s_or_b64 exec, exec, s[24:25]
.LBB4_190:                              ;   in Loop: Header=BB4_130 Depth=2
	v_perm_b32 v0, v24, v20, s37
	v_lshrrev_b32_e32 v24, 16, v24
	v_lshrrev_b32_e32 v1, 16, v20
	v_and_b32_e32 v20, 0x7fff, v1
	v_and_b32_e32 v26, 0x7fff, v24
	v_cmp_lt_u16_e64 s[20:21], s35, v20
	v_cmp_gt_u16_e64 s[22:23], s36, v26
	s_and_b64 s[26:27], s[20:21], s[22:23]
	s_mov_b64 s[24:25], -1
	s_xor_b64 s[26:27], s[26:27], -1
	s_and_b64 vcc, exec, s[76:77]
                                        ; implicit-def: $vgpr20
	s_cbranch_vccz .LBB4_196
; %bb.191:                              ;   in Loop: Header=BB4_130 Depth=2
	v_mov_b32_e32 v20, v24
	s_and_saveexec_b64 s[78:79], s[26:27]
	s_cbranch_execz .LBB4_195
; %bb.192:                              ;   in Loop: Header=BB4_130 Depth=2
	s_or_b64 s[24:25], s[20:21], s[22:23]
	v_mov_b32_e32 v20, v1
	s_and_saveexec_b64 s[88:89], s[24:25]
; %bb.193:                              ;   in Loop: Header=BB4_130 Depth=2
	v_lshrrev_b32_e32 v20, 16, v0
	v_cmp_lt_u16_e32 vcc, s35, v26
	v_cmp_gt_f16_e64 s[24:25], v0, v20
	v_cndmask_b32_e64 v20, v20, v0, s[24:25]
	s_and_b64 vcc, s[20:21], vcc
	v_cndmask_b32_e32 v20, v20, v31, vcc
; %bb.194:                              ;   in Loop: Header=BB4_130 Depth=2
	s_or_b64 exec, exec, s[88:89]
.LBB4_195:                              ;   in Loop: Header=BB4_130 Depth=2
	s_or_b64 exec, exec, s[78:79]
	s_mov_b64 s[24:25], 0
.LBB4_196:                              ;   in Loop: Header=BB4_130 Depth=2
	s_andn2_b64 vcc, exec, s[24:25]
	s_cbranch_vccnz .LBB4_202
; %bb.197:                              ;   in Loop: Header=BB4_130 Depth=2
	s_and_saveexec_b64 s[24:25], s[26:27]
	s_cbranch_execz .LBB4_201
; %bb.198:                              ;   in Loop: Header=BB4_130 Depth=2
	s_or_b64 s[22:23], s[20:21], s[22:23]
	s_and_saveexec_b64 s[26:27], s[22:23]
; %bb.199:                              ;   in Loop: Header=BB4_130 Depth=2
	v_lshrrev_b32_e32 v1, 16, v0
	v_cmp_lt_u16_e32 vcc, s35, v26
	v_cmp_gt_f16_e64 s[22:23], v0, v1
	v_cndmask_b32_e64 v0, v0, v1, s[22:23]
	s_and_b64 vcc, s[20:21], vcc
	v_cndmask_b32_e32 v1, v0, v31, vcc
; %bb.200:                              ;   in Loop: Header=BB4_130 Depth=2
	s_or_b64 exec, exec, s[26:27]
	v_mov_b32_e32 v24, v1
.LBB4_201:                              ;   in Loop: Header=BB4_130 Depth=2
	s_or_b64 exec, exec, s[24:25]
	v_mov_b32_e32 v20, v24
.LBB4_202:                              ;   in Loop: Header=BB4_130 Depth=2
	v_and_b32_e32 v1, 0x7fff, v21
	v_cmp_lt_u16_e64 s[20:21], s35, v1
	v_and_b32_e32 v1, 0x7fff, v25
	v_cmp_gt_u16_e64 s[22:23], s36, v1
	s_and_b64 s[26:27], s[20:21], s[22:23]
	v_perm_b32 v0, v25, v21, s38
	s_mov_b64 s[24:25], -1
	s_xor_b64 s[26:27], s[26:27], -1
	s_and_b64 vcc, exec, s[76:77]
                                        ; implicit-def: $vgpr24
	s_cbranch_vccz .LBB4_208
; %bb.203:                              ;   in Loop: Header=BB4_130 Depth=2
	v_mov_b32_e32 v24, v25
	s_and_saveexec_b64 s[78:79], s[26:27]
	s_cbranch_execz .LBB4_207
; %bb.204:                              ;   in Loop: Header=BB4_130 Depth=2
	s_or_b64 s[24:25], s[20:21], s[22:23]
	v_mov_b32_e32 v24, v21
	s_and_saveexec_b64 s[88:89], s[24:25]
; %bb.205:                              ;   in Loop: Header=BB4_130 Depth=2
	v_lshrrev_b32_e32 v24, 16, v0
	v_cmp_lt_u16_e32 vcc, s35, v1
	v_cmp_gt_f16_e64 s[24:25], v0, v24
	v_cndmask_b32_e64 v24, v24, v0, s[24:25]
	s_and_b64 vcc, s[20:21], vcc
	v_cndmask_b32_e32 v24, v24, v31, vcc
; %bb.206:                              ;   in Loop: Header=BB4_130 Depth=2
	s_or_b64 exec, exec, s[88:89]
.LBB4_207:                              ;   in Loop: Header=BB4_130 Depth=2
	s_or_b64 exec, exec, s[78:79]
	s_mov_b64 s[24:25], 0
.LBB4_208:                              ;   in Loop: Header=BB4_130 Depth=2
	s_andn2_b64 vcc, exec, s[24:25]
	s_cbranch_vccnz .LBB4_214
; %bb.209:                              ;   in Loop: Header=BB4_130 Depth=2
	v_mov_b32_e32 v24, v25
	s_and_saveexec_b64 s[24:25], s[26:27]
	s_cbranch_execz .LBB4_213
; %bb.210:                              ;   in Loop: Header=BB4_130 Depth=2
	s_or_b64 s[22:23], s[20:21], s[22:23]
	v_mov_b32_e32 v24, v21
	s_and_saveexec_b64 s[26:27], s[22:23]
; %bb.211:                              ;   in Loop: Header=BB4_130 Depth=2
	v_cmp_lt_u16_e32 vcc, s35, v1
	v_lshrrev_b32_e32 v1, 16, v0
	v_cmp_gt_f16_e64 s[22:23], v0, v1
	v_cndmask_b32_e64 v0, v0, v1, s[22:23]
	s_and_b64 vcc, s[20:21], vcc
	v_cndmask_b32_e32 v24, v0, v31, vcc
; %bb.212:                              ;   in Loop: Header=BB4_130 Depth=2
	s_or_b64 exec, exec, s[26:27]
.LBB4_213:                              ;   in Loop: Header=BB4_130 Depth=2
	s_or_b64 exec, exec, s[24:25]
.LBB4_214:                              ;   in Loop: Header=BB4_130 Depth=2
	v_lshrrev_b32_e32 v0, 16, v21
	v_lshrrev_b32_e32 v26, 16, v25
	v_perm_b32 v1, v25, v21, s37
	v_and_b32_e32 v21, 0x7fff, v0
	v_and_b32_e32 v25, 0x7fff, v26
	v_cmp_lt_u16_e64 s[20:21], s35, v21
	v_cmp_gt_u16_e64 s[22:23], s36, v25
	s_and_b64 s[26:27], s[20:21], s[22:23]
	s_mov_b64 s[24:25], -1
	s_xor_b64 s[26:27], s[26:27], -1
	s_and_b64 vcc, exec, s[76:77]
                                        ; implicit-def: $vgpr21
	s_cbranch_vccz .LBB4_220
; %bb.215:                              ;   in Loop: Header=BB4_130 Depth=2
	v_mov_b32_e32 v21, v26
	s_and_saveexec_b64 s[78:79], s[26:27]
	s_cbranch_execz .LBB4_219
; %bb.216:                              ;   in Loop: Header=BB4_130 Depth=2
	s_or_b64 s[24:25], s[20:21], s[22:23]
	v_mov_b32_e32 v21, v0
	s_and_saveexec_b64 s[88:89], s[24:25]
; %bb.217:                              ;   in Loop: Header=BB4_130 Depth=2
	v_lshrrev_b32_e32 v21, 16, v1
	v_cmp_lt_u16_e32 vcc, s35, v25
	v_cmp_gt_f16_e64 s[24:25], v1, v21
	v_cndmask_b32_e64 v21, v21, v1, s[24:25]
	s_and_b64 vcc, s[20:21], vcc
	v_cndmask_b32_e32 v21, v21, v31, vcc
; %bb.218:                              ;   in Loop: Header=BB4_130 Depth=2
	s_or_b64 exec, exec, s[88:89]
.LBB4_219:                              ;   in Loop: Header=BB4_130 Depth=2
	s_or_b64 exec, exec, s[78:79]
	s_mov_b64 s[24:25], 0
.LBB4_220:                              ;   in Loop: Header=BB4_130 Depth=2
	s_andn2_b64 vcc, exec, s[24:25]
	s_cbranch_vccnz .LBB4_226
; %bb.221:                              ;   in Loop: Header=BB4_130 Depth=2
	s_and_saveexec_b64 s[24:25], s[26:27]
	s_cbranch_execz .LBB4_225
; %bb.222:                              ;   in Loop: Header=BB4_130 Depth=2
	s_or_b64 s[22:23], s[20:21], s[22:23]
	s_and_saveexec_b64 s[26:27], s[22:23]
; %bb.223:                              ;   in Loop: Header=BB4_130 Depth=2
	v_lshrrev_b32_e32 v0, 16, v1
	v_cmp_lt_u16_e32 vcc, s35, v25
	v_cmp_gt_f16_e64 s[22:23], v1, v0
	v_cndmask_b32_e64 v0, v1, v0, s[22:23]
	s_and_b64 vcc, s[20:21], vcc
	v_cndmask_b32_e32 v0, v0, v31, vcc
; %bb.224:                              ;   in Loop: Header=BB4_130 Depth=2
	s_or_b64 exec, exec, s[26:27]
	v_mov_b32_e32 v26, v0
.LBB4_225:                              ;   in Loop: Header=BB4_130 Depth=2
	s_or_b64 exec, exec, s[24:25]
	v_mov_b32_e32 v21, v26
.LBB4_226:                              ;   in Loop: Header=BB4_130 Depth=2
	v_and_b32_e32 v0, 0x7fff, v10
	v_cmp_lt_u16_e64 s[22:23], s35, v0
	s_waitcnt vmcnt(0)
	v_and_b32_e32 v0, 0x7fff, v14
	v_cmp_gt_u16_e64 s[24:25], s36, v0
	s_and_b64 s[20:21], s[22:23], s[24:25]
	v_cndmask_b32_e64 v1, 0, 1, s[76:77]
	s_mov_b64 s[26:27], -1
	s_xor_b64 s[78:79], s[20:21], -1
	v_cmp_ne_u32_e64 s[20:21], 1, v1
	s_andn2_b64 vcc, exec, s[76:77]
                                        ; implicit-def: $vgpr25
	s_cbranch_vccnz .LBB4_232
; %bb.227:                              ;   in Loop: Header=BB4_130 Depth=2
	v_mov_b32_e32 v25, v14
	s_and_saveexec_b64 s[88:89], s[78:79]
	s_cbranch_execz .LBB4_231
; %bb.228:                              ;   in Loop: Header=BB4_130 Depth=2
	s_or_b64 s[26:27], s[22:23], s[24:25]
	v_mov_b32_e32 v25, v10
	s_and_saveexec_b64 s[90:91], s[26:27]
; %bb.229:                              ;   in Loop: Header=BB4_130 Depth=2
	v_cmp_lt_u16_e32 vcc, s35, v0
	v_cmp_gt_f16_e64 s[26:27], v10, v14
	v_cndmask_b32_e64 v1, v14, v10, s[26:27]
	s_and_b64 vcc, s[22:23], vcc
	v_cndmask_b32_e32 v25, v1, v31, vcc
; %bb.230:                              ;   in Loop: Header=BB4_130 Depth=2
	s_or_b64 exec, exec, s[90:91]
.LBB4_231:                              ;   in Loop: Header=BB4_130 Depth=2
	s_or_b64 exec, exec, s[88:89]
	s_mov_b64 s[26:27], 0
.LBB4_232:                              ;   in Loop: Header=BB4_130 Depth=2
	s_andn2_b64 vcc, exec, s[26:27]
	s_cbranch_vccnz .LBB4_238
; %bb.233:                              ;   in Loop: Header=BB4_130 Depth=2
	v_mov_b32_e32 v25, v14
	s_and_saveexec_b64 s[26:27], s[78:79]
	s_cbranch_execz .LBB4_237
; %bb.234:                              ;   in Loop: Header=BB4_130 Depth=2
	s_or_b64 s[24:25], s[22:23], s[24:25]
	v_mov_b32_e32 v25, v10
	s_and_saveexec_b64 s[78:79], s[24:25]
; %bb.235:                              ;   in Loop: Header=BB4_130 Depth=2
	v_cmp_lt_u16_e32 vcc, s35, v0
	v_cmp_gt_f16_e64 s[24:25], v10, v14
	v_cndmask_b32_e64 v0, v10, v14, s[24:25]
	s_and_b64 vcc, s[22:23], vcc
	v_cndmask_b32_e32 v25, v0, v31, vcc
; %bb.236:                              ;   in Loop: Header=BB4_130 Depth=2
	s_or_b64 exec, exec, s[78:79]
.LBB4_237:                              ;   in Loop: Header=BB4_130 Depth=2
	s_or_b64 exec, exec, s[26:27]
.LBB4_238:                              ;   in Loop: Header=BB4_130 Depth=2
	v_perm_b32 v0, v14, v10, s37
	v_lshrrev_b32_e32 v14, 16, v14
	v_lshrrev_b32_e32 v1, 16, v10
	v_and_b32_e32 v10, 0x7fff, v1
	v_and_b32_e32 v26, 0x7fff, v14
	v_cmp_lt_u16_e64 s[22:23], s35, v10
	v_cmp_gt_u16_e64 s[24:25], s36, v26
	s_and_b64 s[78:79], s[22:23], s[24:25]
	s_mov_b64 s[26:27], -1
	s_and_b64 vcc, exec, s[20:21]
	s_xor_b64 s[78:79], s[78:79], -1
                                        ; implicit-def: $vgpr10
	s_cbranch_vccnz .LBB4_244
; %bb.239:                              ;   in Loop: Header=BB4_130 Depth=2
	v_mov_b32_e32 v10, v14
	s_and_saveexec_b64 s[88:89], s[78:79]
	s_cbranch_execz .LBB4_243
; %bb.240:                              ;   in Loop: Header=BB4_130 Depth=2
	s_or_b64 s[26:27], s[22:23], s[24:25]
	v_mov_b32_e32 v10, v1
	s_and_saveexec_b64 s[90:91], s[26:27]
; %bb.241:                              ;   in Loop: Header=BB4_130 Depth=2
	v_lshrrev_b32_e32 v10, 16, v0
	v_cmp_lt_u16_e32 vcc, s35, v26
	v_cmp_gt_f16_e64 s[26:27], v0, v10
	v_cndmask_b32_e64 v10, v10, v0, s[26:27]
	s_and_b64 vcc, s[22:23], vcc
	v_cndmask_b32_e32 v10, v10, v31, vcc
; %bb.242:                              ;   in Loop: Header=BB4_130 Depth=2
	s_or_b64 exec, exec, s[90:91]
.LBB4_243:                              ;   in Loop: Header=BB4_130 Depth=2
	s_or_b64 exec, exec, s[88:89]
	s_mov_b64 s[26:27], 0
.LBB4_244:                              ;   in Loop: Header=BB4_130 Depth=2
	s_andn2_b64 vcc, exec, s[26:27]
	s_cbranch_vccnz .LBB4_250
; %bb.245:                              ;   in Loop: Header=BB4_130 Depth=2
	s_and_saveexec_b64 s[26:27], s[78:79]
	s_cbranch_execz .LBB4_249
; %bb.246:                              ;   in Loop: Header=BB4_130 Depth=2
	s_or_b64 s[24:25], s[22:23], s[24:25]
	s_and_saveexec_b64 s[78:79], s[24:25]
; %bb.247:                              ;   in Loop: Header=BB4_130 Depth=2
	v_lshrrev_b32_e32 v1, 16, v0
	v_cmp_lt_u16_e32 vcc, s35, v26
	v_cmp_gt_f16_e64 s[24:25], v0, v1
	v_cndmask_b32_e64 v0, v0, v1, s[24:25]
	s_and_b64 vcc, s[22:23], vcc
	v_cndmask_b32_e32 v1, v0, v31, vcc
; %bb.248:                              ;   in Loop: Header=BB4_130 Depth=2
	s_or_b64 exec, exec, s[78:79]
	v_mov_b32_e32 v14, v1
.LBB4_249:                              ;   in Loop: Header=BB4_130 Depth=2
	s_or_b64 exec, exec, s[26:27]
	v_mov_b32_e32 v10, v14
.LBB4_250:                              ;   in Loop: Header=BB4_130 Depth=2
	v_and_b32_e32 v1, 0x7fff, v11
	v_cmp_lt_u16_e64 s[22:23], s35, v1
	v_and_b32_e32 v1, 0x7fff, v15
	v_cmp_gt_u16_e64 s[24:25], s36, v1
	s_and_b64 s[78:79], s[22:23], s[24:25]
	v_perm_b32 v0, v15, v11, s38
	s_mov_b64 s[26:27], -1
	s_and_b64 vcc, exec, s[20:21]
	s_xor_b64 s[78:79], s[78:79], -1
                                        ; implicit-def: $vgpr14
	s_cbranch_vccnz .LBB4_256
; %bb.251:                              ;   in Loop: Header=BB4_130 Depth=2
	v_mov_b32_e32 v14, v15
	s_and_saveexec_b64 s[88:89], s[78:79]
	s_cbranch_execz .LBB4_255
; %bb.252:                              ;   in Loop: Header=BB4_130 Depth=2
	s_or_b64 s[26:27], s[22:23], s[24:25]
	v_mov_b32_e32 v14, v11
	s_and_saveexec_b64 s[90:91], s[26:27]
; %bb.253:                              ;   in Loop: Header=BB4_130 Depth=2
	v_lshrrev_b32_e32 v14, 16, v0
	v_cmp_lt_u16_e32 vcc, s35, v1
	v_cmp_gt_f16_e64 s[26:27], v0, v14
	v_cndmask_b32_e64 v14, v14, v0, s[26:27]
	s_and_b64 vcc, s[22:23], vcc
	v_cndmask_b32_e32 v14, v14, v31, vcc
; %bb.254:                              ;   in Loop: Header=BB4_130 Depth=2
	s_or_b64 exec, exec, s[90:91]
.LBB4_255:                              ;   in Loop: Header=BB4_130 Depth=2
	s_or_b64 exec, exec, s[88:89]
	s_mov_b64 s[26:27], 0
.LBB4_256:                              ;   in Loop: Header=BB4_130 Depth=2
	s_andn2_b64 vcc, exec, s[26:27]
	s_cbranch_vccnz .LBB4_262
; %bb.257:                              ;   in Loop: Header=BB4_130 Depth=2
	v_mov_b32_e32 v14, v15
	s_and_saveexec_b64 s[26:27], s[78:79]
	s_cbranch_execz .LBB4_261
; %bb.258:                              ;   in Loop: Header=BB4_130 Depth=2
	s_or_b64 s[24:25], s[22:23], s[24:25]
	v_mov_b32_e32 v14, v11
	s_and_saveexec_b64 s[78:79], s[24:25]
; %bb.259:                              ;   in Loop: Header=BB4_130 Depth=2
	v_cmp_lt_u16_e32 vcc, s35, v1
	v_lshrrev_b32_e32 v1, 16, v0
	v_cmp_gt_f16_e64 s[24:25], v0, v1
	v_cndmask_b32_e64 v0, v0, v1, s[24:25]
	s_and_b64 vcc, s[22:23], vcc
	v_cndmask_b32_e32 v14, v0, v31, vcc
; %bb.260:                              ;   in Loop: Header=BB4_130 Depth=2
	s_or_b64 exec, exec, s[78:79]
.LBB4_261:                              ;   in Loop: Header=BB4_130 Depth=2
	s_or_b64 exec, exec, s[26:27]
.LBB4_262:                              ;   in Loop: Header=BB4_130 Depth=2
	v_lshrrev_b32_e32 v0, 16, v11
	v_lshrrev_b32_e32 v26, 16, v15
	v_perm_b32 v1, v15, v11, s37
	v_and_b32_e32 v11, 0x7fff, v0
	v_and_b32_e32 v15, 0x7fff, v26
	v_cmp_lt_u16_e64 s[22:23], s35, v11
	v_cmp_gt_u16_e64 s[24:25], s36, v15
	s_and_b64 s[78:79], s[22:23], s[24:25]
	s_mov_b64 s[26:27], -1
	s_and_b64 vcc, exec, s[20:21]
	s_xor_b64 s[78:79], s[78:79], -1
                                        ; implicit-def: $vgpr11
	s_cbranch_vccnz .LBB4_268
; %bb.263:                              ;   in Loop: Header=BB4_130 Depth=2
	v_mov_b32_e32 v11, v26
	s_and_saveexec_b64 s[88:89], s[78:79]
	s_cbranch_execz .LBB4_267
; %bb.264:                              ;   in Loop: Header=BB4_130 Depth=2
	s_or_b64 s[26:27], s[22:23], s[24:25]
	v_mov_b32_e32 v11, v0
	s_and_saveexec_b64 s[90:91], s[26:27]
; %bb.265:                              ;   in Loop: Header=BB4_130 Depth=2
	v_lshrrev_b32_e32 v11, 16, v1
	v_cmp_lt_u16_e32 vcc, s35, v15
	v_cmp_gt_f16_e64 s[26:27], v1, v11
	v_cndmask_b32_e64 v11, v11, v1, s[26:27]
	s_and_b64 vcc, s[22:23], vcc
	v_cndmask_b32_e32 v11, v11, v31, vcc
; %bb.266:                              ;   in Loop: Header=BB4_130 Depth=2
	s_or_b64 exec, exec, s[90:91]
.LBB4_267:                              ;   in Loop: Header=BB4_130 Depth=2
	s_or_b64 exec, exec, s[88:89]
	s_mov_b64 s[26:27], 0
.LBB4_268:                              ;   in Loop: Header=BB4_130 Depth=2
	s_andn2_b64 vcc, exec, s[26:27]
	s_cbranch_vccnz .LBB4_274
; %bb.269:                              ;   in Loop: Header=BB4_130 Depth=2
	s_and_saveexec_b64 s[26:27], s[78:79]
	s_cbranch_execz .LBB4_273
; %bb.270:                              ;   in Loop: Header=BB4_130 Depth=2
	s_or_b64 s[24:25], s[22:23], s[24:25]
	s_and_saveexec_b64 s[78:79], s[24:25]
; %bb.271:                              ;   in Loop: Header=BB4_130 Depth=2
	v_lshrrev_b32_e32 v0, 16, v1
	v_cmp_lt_u16_e32 vcc, s35, v15
	v_cmp_gt_f16_e64 s[24:25], v1, v0
	v_cndmask_b32_e64 v0, v1, v0, s[24:25]
	s_and_b64 vcc, s[22:23], vcc
	v_cndmask_b32_e32 v0, v0, v31, vcc
; %bb.272:                              ;   in Loop: Header=BB4_130 Depth=2
	s_or_b64 exec, exec, s[78:79]
	v_mov_b32_e32 v26, v0
.LBB4_273:                              ;   in Loop: Header=BB4_130 Depth=2
	s_or_b64 exec, exec, s[26:27]
	v_mov_b32_e32 v11, v26
.LBB4_274:                              ;   in Loop: Header=BB4_130 Depth=2
	v_and_b32_e32 v0, 0x7fff, v12
	v_cmp_lt_u16_e64 s[22:23], s35, v0
	v_and_b32_e32 v0, 0x7fff, v16
	v_cmp_gt_u16_e64 s[24:25], s36, v0
	s_and_b64 s[78:79], s[22:23], s[24:25]
	s_mov_b64 s[26:27], -1
	s_and_b64 vcc, exec, s[20:21]
	s_xor_b64 s[78:79], s[78:79], -1
                                        ; implicit-def: $vgpr15
	s_cbranch_vccnz .LBB4_280
; %bb.275:                              ;   in Loop: Header=BB4_130 Depth=2
	v_mov_b32_e32 v15, v16
	s_and_saveexec_b64 s[88:89], s[78:79]
	s_cbranch_execz .LBB4_279
; %bb.276:                              ;   in Loop: Header=BB4_130 Depth=2
	s_or_b64 s[26:27], s[22:23], s[24:25]
	v_mov_b32_e32 v15, v12
	s_and_saveexec_b64 s[90:91], s[26:27]
; %bb.277:                              ;   in Loop: Header=BB4_130 Depth=2
	v_cmp_lt_u16_e32 vcc, s35, v0
	v_cmp_gt_f16_e64 s[26:27], v12, v16
	v_cndmask_b32_e64 v1, v16, v12, s[26:27]
	s_and_b64 vcc, s[22:23], vcc
	v_cndmask_b32_e32 v15, v1, v31, vcc
; %bb.278:                              ;   in Loop: Header=BB4_130 Depth=2
	s_or_b64 exec, exec, s[90:91]
.LBB4_279:                              ;   in Loop: Header=BB4_130 Depth=2
	s_or_b64 exec, exec, s[88:89]
	s_mov_b64 s[26:27], 0
.LBB4_280:                              ;   in Loop: Header=BB4_130 Depth=2
	s_andn2_b64 vcc, exec, s[26:27]
	s_cbranch_vccnz .LBB4_286
; %bb.281:                              ;   in Loop: Header=BB4_130 Depth=2
	v_mov_b32_e32 v15, v16
	s_and_saveexec_b64 s[26:27], s[78:79]
	s_cbranch_execz .LBB4_285
; %bb.282:                              ;   in Loop: Header=BB4_130 Depth=2
	s_or_b64 s[24:25], s[22:23], s[24:25]
	v_mov_b32_e32 v15, v12
	s_and_saveexec_b64 s[78:79], s[24:25]
; %bb.283:                              ;   in Loop: Header=BB4_130 Depth=2
	v_cmp_lt_u16_e32 vcc, s35, v0
	v_cmp_gt_f16_e64 s[24:25], v12, v16
	v_cndmask_b32_e64 v0, v12, v16, s[24:25]
	s_and_b64 vcc, s[22:23], vcc
	v_cndmask_b32_e32 v15, v0, v31, vcc
; %bb.284:                              ;   in Loop: Header=BB4_130 Depth=2
	s_or_b64 exec, exec, s[78:79]
.LBB4_285:                              ;   in Loop: Header=BB4_130 Depth=2
	s_or_b64 exec, exec, s[26:27]
.LBB4_286:                              ;   in Loop: Header=BB4_130 Depth=2
	v_perm_b32 v0, v16, v12, s37
	v_lshrrev_b32_e32 v16, 16, v16
	v_lshrrev_b32_e32 v1, 16, v12
	v_and_b32_e32 v12, 0x7fff, v1
	v_and_b32_e32 v26, 0x7fff, v16
	v_cmp_lt_u16_e64 s[22:23], s35, v12
	v_cmp_gt_u16_e64 s[24:25], s36, v26
	s_and_b64 s[78:79], s[22:23], s[24:25]
	s_mov_b64 s[26:27], -1
	s_and_b64 vcc, exec, s[20:21]
	s_xor_b64 s[78:79], s[78:79], -1
                                        ; implicit-def: $vgpr12
	s_cbranch_vccnz .LBB4_292
; %bb.287:                              ;   in Loop: Header=BB4_130 Depth=2
	v_mov_b32_e32 v12, v16
	s_and_saveexec_b64 s[88:89], s[78:79]
	s_cbranch_execz .LBB4_291
; %bb.288:                              ;   in Loop: Header=BB4_130 Depth=2
	s_or_b64 s[26:27], s[22:23], s[24:25]
	v_mov_b32_e32 v12, v1
	s_and_saveexec_b64 s[90:91], s[26:27]
; %bb.289:                              ;   in Loop: Header=BB4_130 Depth=2
	v_lshrrev_b32_e32 v12, 16, v0
	v_cmp_lt_u16_e32 vcc, s35, v26
	v_cmp_gt_f16_e64 s[26:27], v0, v12
	v_cndmask_b32_e64 v12, v12, v0, s[26:27]
	s_and_b64 vcc, s[22:23], vcc
	v_cndmask_b32_e32 v12, v12, v31, vcc
; %bb.290:                              ;   in Loop: Header=BB4_130 Depth=2
	s_or_b64 exec, exec, s[90:91]
.LBB4_291:                              ;   in Loop: Header=BB4_130 Depth=2
	s_or_b64 exec, exec, s[88:89]
	s_mov_b64 s[26:27], 0
.LBB4_292:                              ;   in Loop: Header=BB4_130 Depth=2
	s_andn2_b64 vcc, exec, s[26:27]
	s_cbranch_vccnz .LBB4_298
; %bb.293:                              ;   in Loop: Header=BB4_130 Depth=2
	s_and_saveexec_b64 s[26:27], s[78:79]
	s_cbranch_execz .LBB4_297
; %bb.294:                              ;   in Loop: Header=BB4_130 Depth=2
	s_or_b64 s[24:25], s[22:23], s[24:25]
	s_and_saveexec_b64 s[78:79], s[24:25]
; %bb.295:                              ;   in Loop: Header=BB4_130 Depth=2
	v_lshrrev_b32_e32 v1, 16, v0
	v_cmp_lt_u16_e32 vcc, s35, v26
	v_cmp_gt_f16_e64 s[24:25], v0, v1
	v_cndmask_b32_e64 v0, v0, v1, s[24:25]
	s_and_b64 vcc, s[22:23], vcc
	v_cndmask_b32_e32 v1, v0, v31, vcc
; %bb.296:                              ;   in Loop: Header=BB4_130 Depth=2
	s_or_b64 exec, exec, s[78:79]
	v_mov_b32_e32 v16, v1
.LBB4_297:                              ;   in Loop: Header=BB4_130 Depth=2
	s_or_b64 exec, exec, s[26:27]
	v_mov_b32_e32 v12, v16
.LBB4_298:                              ;   in Loop: Header=BB4_130 Depth=2
	v_and_b32_e32 v1, 0x7fff, v13
	v_cmp_lt_u16_e64 s[22:23], s35, v1
	v_and_b32_e32 v1, 0x7fff, v17
	v_cmp_gt_u16_e64 s[24:25], s36, v1
	s_and_b64 s[78:79], s[22:23], s[24:25]
	v_perm_b32 v0, v17, v13, s38
	s_mov_b64 s[26:27], -1
	s_and_b64 vcc, exec, s[20:21]
	s_xor_b64 s[78:79], s[78:79], -1
                                        ; implicit-def: $vgpr16
	s_cbranch_vccnz .LBB4_304
; %bb.299:                              ;   in Loop: Header=BB4_130 Depth=2
	v_mov_b32_e32 v16, v17
	s_and_saveexec_b64 s[88:89], s[78:79]
	s_cbranch_execz .LBB4_303
; %bb.300:                              ;   in Loop: Header=BB4_130 Depth=2
	s_or_b64 s[26:27], s[22:23], s[24:25]
	v_mov_b32_e32 v16, v13
	s_and_saveexec_b64 s[90:91], s[26:27]
; %bb.301:                              ;   in Loop: Header=BB4_130 Depth=2
	v_lshrrev_b32_e32 v16, 16, v0
	v_cmp_lt_u16_e32 vcc, s35, v1
	v_cmp_gt_f16_e64 s[26:27], v0, v16
	v_cndmask_b32_e64 v16, v16, v0, s[26:27]
	s_and_b64 vcc, s[22:23], vcc
	v_cndmask_b32_e32 v16, v16, v31, vcc
; %bb.302:                              ;   in Loop: Header=BB4_130 Depth=2
	s_or_b64 exec, exec, s[90:91]
.LBB4_303:                              ;   in Loop: Header=BB4_130 Depth=2
	s_or_b64 exec, exec, s[88:89]
	s_mov_b64 s[26:27], 0
.LBB4_304:                              ;   in Loop: Header=BB4_130 Depth=2
	s_andn2_b64 vcc, exec, s[26:27]
	s_cbranch_vccnz .LBB4_310
; %bb.305:                              ;   in Loop: Header=BB4_130 Depth=2
	v_mov_b32_e32 v16, v17
	s_and_saveexec_b64 s[26:27], s[78:79]
	s_cbranch_execz .LBB4_309
; %bb.306:                              ;   in Loop: Header=BB4_130 Depth=2
	s_or_b64 s[24:25], s[22:23], s[24:25]
	v_mov_b32_e32 v16, v13
	s_and_saveexec_b64 s[78:79], s[24:25]
; %bb.307:                              ;   in Loop: Header=BB4_130 Depth=2
	v_cmp_lt_u16_e32 vcc, s35, v1
	v_lshrrev_b32_e32 v1, 16, v0
	v_cmp_gt_f16_e64 s[24:25], v0, v1
	v_cndmask_b32_e64 v0, v0, v1, s[24:25]
	s_and_b64 vcc, s[22:23], vcc
	v_cndmask_b32_e32 v16, v0, v31, vcc
; %bb.308:                              ;   in Loop: Header=BB4_130 Depth=2
	s_or_b64 exec, exec, s[78:79]
.LBB4_309:                              ;   in Loop: Header=BB4_130 Depth=2
	s_or_b64 exec, exec, s[26:27]
.LBB4_310:                              ;   in Loop: Header=BB4_130 Depth=2
	v_lshrrev_b32_e32 v0, 16, v13
	v_lshrrev_b32_e32 v26, 16, v17
	v_perm_b32 v1, v17, v13, s37
	v_and_b32_e32 v13, 0x7fff, v0
	v_cmp_lt_u16_e64 s[22:23], s35, v13
	v_and_b32_e32 v13, 0x7fff, v26
	v_cmp_gt_u16_e64 s[24:25], s36, v13
	s_and_b64 s[26:27], s[22:23], s[24:25]
	s_mov_b64 s[78:79], -1
	s_and_b64 vcc, exec, s[20:21]
	s_xor_b64 s[26:27], s[26:27], -1
                                        ; implicit-def: $vgpr17
	s_cbranch_vccnz .LBB4_316
; %bb.311:                              ;   in Loop: Header=BB4_130 Depth=2
	v_mov_b32_e32 v17, v26
	s_and_saveexec_b64 s[78:79], s[26:27]
	s_cbranch_execz .LBB4_315
; %bb.312:                              ;   in Loop: Header=BB4_130 Depth=2
	s_or_b64 s[20:21], s[22:23], s[24:25]
	v_mov_b32_e32 v17, v0
	s_and_saveexec_b64 s[88:89], s[20:21]
; %bb.313:                              ;   in Loop: Header=BB4_130 Depth=2
	v_lshrrev_b32_e32 v17, 16, v1
	v_cmp_lt_u16_e32 vcc, s35, v13
	v_cmp_gt_f16_e64 s[20:21], v1, v17
	v_cndmask_b32_e64 v17, v17, v1, s[20:21]
	s_and_b64 vcc, s[22:23], vcc
	v_cndmask_b32_e32 v17, v17, v31, vcc
; %bb.314:                              ;   in Loop: Header=BB4_130 Depth=2
	s_or_b64 exec, exec, s[88:89]
.LBB4_315:                              ;   in Loop: Header=BB4_130 Depth=2
	s_or_b64 exec, exec, s[78:79]
	s_mov_b64 s[78:79], 0
.LBB4_316:                              ;   in Loop: Header=BB4_130 Depth=2
	s_andn2_b64 vcc, exec, s[78:79]
	s_cbranch_vccnz .LBB4_129
; %bb.317:                              ;   in Loop: Header=BB4_130 Depth=2
	s_and_saveexec_b64 s[78:79], s[26:27]
	s_cbranch_execz .LBB4_128
; %bb.318:                              ;   in Loop: Header=BB4_130 Depth=2
	s_or_b64 s[20:21], s[22:23], s[24:25]
	s_and_saveexec_b64 s[24:25], s[20:21]
	s_cbranch_execz .LBB4_127
; %bb.319:                              ;   in Loop: Header=BB4_130 Depth=2
	v_lshrrev_b32_e32 v0, 16, v1
	v_cmp_lt_u16_e32 vcc, s35, v13
	v_cmp_gt_f16_e64 s[20:21], v1, v0
	v_cndmask_b32_e64 v0, v1, v0, s[20:21]
	s_and_b64 vcc, s[22:23], vcc
	v_cndmask_b32_e32 v0, v0, v31, vcc
	s_branch .LBB4_127
.LBB4_320:                              ;   in Loop: Header=BB4_49 Depth=1
	s_or_b64 exec, exec, s[74:75]
	buffer_load_dword v56, off, s[0:3], s33 offset:80 ; 4-byte Folded Reload
	buffer_load_dword v45, off, s[0:3], s33 offset:68 ; 4-byte Folded Reload
	;; [unrolled: 1-line block ×4, first 2 shown]
	v_mov_b32_e32 v26, 0xc8
	v_mov_b32_e32 v59, 0x90
	v_lshrrev_b32_e32 v0, 10, v53
.LBB4_321:                              ;   in Loop: Header=BB4_49 Depth=1
	s_or_b64 exec, exec, s[72:73]
	v_lshlrev_b32_e32 v24, 11, v0
	v_cmp_ne_u32_e32 vcc, v28, v24
	s_mov_b64 s[20:21], 0
	v_mov_b32_e32 v16, 0
                                        ; implicit-def: $vgpr17
	s_and_saveexec_b64 s[72:73], vcc
	s_cbranch_execz .LBB4_391
; %bb.322:                              ;   in Loop: Header=BB4_49 Depth=1
	buffer_load_dword v10, off, s[0:3], s33 offset:120 ; 4-byte Folded Reload
	v_lshlrev_b32_e32 v0, 6, v29
	v_sub_u32_e32 v1, v28, v24
	s_waitcnt vmcnt(0)
	v_sub_u32_e32 v0, v10, v0
	v_ashrrev_i32_e32 v10, 31, v0
	v_lshrrev_b32_e32 v10, 26, v10
	v_add_u32_e32 v10, v0, v10
	v_ashrrev_i32_e32 v11, 6, v10
	v_and_b32_e32 v10, 0xffffffc0, v10
	v_sub_u32_e32 v25, v0, v10
	v_ashrrev_i32_e32 v10, 31, v1
	v_lshrrev_b32_e32 v10, 22, v10
	v_add_u32_e32 v10, v1, v10
	v_and_b32_e32 v29, 0xfffffc00, v10
	v_lshlrev_b32_e32 v0, 4, v25
	v_sub_u32_e32 v45, v1, v29
	v_lshl_add_u32 v0, v11, 10, v0
	v_ashrrev_i32_e32 v12, 10, v10
	v_cmp_lt_i32_e64 s[20:21], 15, v45
	v_sub_u32_e32 v56, v1, v0
	v_addc_co_u32_e64 v1, vcc, 0, v12, s[20:21]
	v_sub_u32_e32 v46, v1, v11
	v_cmp_lt_i32_e32 vcc, 15, v56
	s_and_saveexec_b64 s[74:75], vcc
	s_cbranch_execz .LBB4_390
; %bb.323:                              ;   in Loop: Header=BB4_49 Depth=1
	v_add_u32_e32 v10, v0, v24
	s_trap 2
	ds_read_b64 v[0:1], v0
	v_ashrrev_i32_e32 v11, 31, v10
	v_add_co_u32_e32 v18, vcc, v10, v41
	v_addc_co_u32_e32 v19, vcc, v11, v42, vcc
	s_waitcnt lgkmcnt(0)
	v_add_co_u32_e32 v20, vcc, v0, v10
	v_addc_co_u32_e32 v21, vcc, v1, v11, vcc
	v_add_co_u32_e32 v22, vcc, v10, v43
	s_bitcmp1_b32 s94, 0
	v_addc_co_u32_e32 v23, vcc, v11, v44, vcc
	s_mov_b64 s[76:77], 0
	s_cselect_b64 s[78:79], -1, 0
	s_branch .LBB4_326
.LBB4_324:                              ;   in Loop: Header=BB4_326 Depth=2
	s_or_b64 exec, exec, s[90:91]
	v_mov_b32_e32 v13, v0
.LBB4_325:                              ;   in Loop: Header=BB4_326 Depth=2
	v_lshlrev_b32_e32 v0, 16, v11
	v_and_b32_e32 v1, 0xffff, v14
	v_lshlrev_b32_e32 v10, 16, v10
	v_and_b32_e32 v11, 0xffff, v57
	v_add_co_u32_e32 v18, vcc, v18, v47
	v_or_b32_e32 v10, v10, v11
	v_or3_b32 v11, v0, v1, 0
	v_lshlrev_b32_e32 v0, 16, v12
	v_and_b32_e32 v1, 0xffff, v15
	v_addc_co_u32_e32 v19, vcc, 0, v19, vcc
	v_or_b32_e32 v0, v0, v1
	v_lshlrev_b32_e32 v1, 16, v13
	v_and_b32_e32 v12, 0xffff, v16
	v_add_co_u32_e32 v20, vcc, v20, v47
	v_or3_b32 v10, 0, 0, v10
	v_or3_b32 v13, v1, v12, 0
	;; [unrolled: 1-line block ×3, first 2 shown]
	v_addc_co_u32_e32 v21, vcc, 0, v21, vcc
	global_store_dwordx4 v[22:23], v[10:13], off glc slc
	v_add_co_u32_e32 v22, vcc, v22, v47
	v_addc_co_u32_e32 v23, vcc, 0, v23, vcc
	v_sub_u32_e32 v56, v56, v47
	v_cmp_gt_i32_e32 vcc, 16, v56
	s_or_b64 s[76:77], vcc, s[76:77]
	v_sub_u32_e32 v46, v46, v62
	s_andn2_b64 exec, exec, s[76:77]
	s_cbranch_execz .LBB4_389
.LBB4_326:                              ;   Parent Loop BB4_49 Depth=1
                                        ; =>  This Inner Loop Header: Depth=2
	global_load_dwordx4 v[10:13], v[18:19], off glc slc
	global_load_dwordx4 v[14:17], v[20:21], off glc slc
	s_mov_b64 s[90:91], -1
	s_and_b64 vcc, exec, s[78:79]
                                        ; implicit-def: $vgpr57
	s_waitcnt vmcnt(0)
	v_and_b32_e32 v0, 0x7fff, v14
	v_cmp_gt_u16_e64 s[22:23], s36, v0
	v_cmp_lt_u16_e64 s[24:25], s35, v0
	v_and_b32_e32 v0, 0x7fff, v10
	v_cmp_lt_u16_e64 s[26:27], s35, v0
	s_and_b64 s[88:89], s[26:27], s[22:23]
	s_xor_b64 s[88:89], s[88:89], -1
	s_cbranch_vccz .LBB4_330
; %bb.327:                              ;   in Loop: Header=BB4_326 Depth=2
	v_mov_b32_e32 v57, v14
	s_and_saveexec_b64 s[90:91], s[88:89]
; %bb.328:                              ;   in Loop: Header=BB4_326 Depth=2
	v_cmp_gt_f16_e32 vcc, v10, v14
	v_cndmask_b32_e32 v0, v14, v10, vcc
	s_and_b64 vcc, s[26:27], s[24:25]
	v_cndmask_b32_e32 v0, v0, v31, vcc
	s_or_b64 vcc, s[26:27], s[22:23]
	v_cndmask_b32_e32 v57, v10, v0, vcc
; %bb.329:                              ;   in Loop: Header=BB4_326 Depth=2
	s_or_b64 exec, exec, s[90:91]
	s_mov_b64 s[90:91], 0
.LBB4_330:                              ;   in Loop: Header=BB4_326 Depth=2
	s_andn2_b64 vcc, exec, s[90:91]
	s_cbranch_vccnz .LBB4_334
; %bb.331:                              ;   in Loop: Header=BB4_326 Depth=2
	v_mov_b32_e32 v57, v14
	s_and_saveexec_b64 s[90:91], s[88:89]
; %bb.332:                              ;   in Loop: Header=BB4_326 Depth=2
	v_cmp_gt_f16_e32 vcc, v10, v14
	v_cndmask_b32_e32 v0, v10, v14, vcc
	s_and_b64 vcc, s[26:27], s[24:25]
	v_cndmask_b32_e32 v0, v0, v31, vcc
	s_or_b64 vcc, s[26:27], s[22:23]
	v_cndmask_b32_e32 v57, v10, v0, vcc
; %bb.333:                              ;   in Loop: Header=BB4_326 Depth=2
	s_or_b64 exec, exec, s[90:91]
.LBB4_334:                              ;   in Loop: Header=BB4_326 Depth=2
	v_lshrrev_b32_e32 v0, 16, v14
	v_and_b32_e32 v1, 0x7fff, v0
	v_cmp_gt_u16_e64 s[22:23], s36, v1
	v_cmp_lt_u16_e64 s[24:25], s35, v1
	v_lshrrev_b32_e32 v1, 16, v10
	v_and_b32_e32 v10, 0x7fff, v1
	v_cmp_lt_u16_e64 s[26:27], s35, v10
	s_and_b64 s[88:89], s[26:27], s[22:23]
	s_mov_b64 s[90:91], -1
	s_xor_b64 s[88:89], s[88:89], -1
	s_and_b64 vcc, exec, s[78:79]
                                        ; implicit-def: $vgpr10
	s_cbranch_vccz .LBB4_338
; %bb.335:                              ;   in Loop: Header=BB4_326 Depth=2
	v_mov_b32_e32 v10, v0
	s_and_saveexec_b64 s[90:91], s[88:89]
; %bb.336:                              ;   in Loop: Header=BB4_326 Depth=2
	v_cmp_gt_f16_e32 vcc, v1, v0
	v_cndmask_b32_e32 v10, v0, v1, vcc
	s_and_b64 vcc, s[26:27], s[24:25]
	v_cndmask_b32_e32 v10, v10, v31, vcc
	s_or_b64 vcc, s[26:27], s[22:23]
	v_cndmask_b32_e32 v10, v1, v10, vcc
; %bb.337:                              ;   in Loop: Header=BB4_326 Depth=2
	s_or_b64 exec, exec, s[90:91]
	s_mov_b64 s[90:91], 0
.LBB4_338:                              ;   in Loop: Header=BB4_326 Depth=2
	s_andn2_b64 vcc, exec, s[90:91]
	s_cbranch_vccnz .LBB4_342
; %bb.339:                              ;   in Loop: Header=BB4_326 Depth=2
	s_and_saveexec_b64 s[90:91], s[88:89]
; %bb.340:                              ;   in Loop: Header=BB4_326 Depth=2
	v_cmp_gt_f16_e32 vcc, v1, v0
	v_cndmask_b32_e32 v0, v1, v0, vcc
	s_and_b64 vcc, s[26:27], s[24:25]
	v_cndmask_b32_e32 v0, v0, v31, vcc
	s_or_b64 vcc, s[26:27], s[22:23]
	v_cndmask_b32_e32 v0, v1, v0, vcc
; %bb.341:                              ;   in Loop: Header=BB4_326 Depth=2
	s_or_b64 exec, exec, s[90:91]
	v_mov_b32_e32 v10, v0
.LBB4_342:                              ;   in Loop: Header=BB4_326 Depth=2
	v_and_b32_e32 v0, 0x7fff, v15
	v_cmp_gt_u16_e64 s[22:23], s36, v0
	v_cmp_lt_u16_e64 s[24:25], s35, v0
	v_and_b32_e32 v0, 0x7fff, v11
	v_cmp_lt_u16_e64 s[26:27], s35, v0
	s_and_b64 s[88:89], s[26:27], s[22:23]
	s_mov_b64 s[90:91], -1
	s_xor_b64 s[88:89], s[88:89], -1
	s_and_b64 vcc, exec, s[78:79]
                                        ; implicit-def: $vgpr14
	s_cbranch_vccz .LBB4_346
; %bb.343:                              ;   in Loop: Header=BB4_326 Depth=2
	v_mov_b32_e32 v14, v15
	s_and_saveexec_b64 s[90:91], s[88:89]
; %bb.344:                              ;   in Loop: Header=BB4_326 Depth=2
	v_cmp_gt_f16_e32 vcc, v11, v15
	v_cndmask_b32_e32 v0, v15, v11, vcc
	s_and_b64 vcc, s[26:27], s[24:25]
	v_cndmask_b32_e32 v0, v0, v31, vcc
	s_or_b64 vcc, s[26:27], s[22:23]
	v_cndmask_b32_e32 v14, v11, v0, vcc
; %bb.345:                              ;   in Loop: Header=BB4_326 Depth=2
	s_or_b64 exec, exec, s[90:91]
	s_mov_b64 s[90:91], 0
.LBB4_346:                              ;   in Loop: Header=BB4_326 Depth=2
	s_andn2_b64 vcc, exec, s[90:91]
	s_cbranch_vccnz .LBB4_350
; %bb.347:                              ;   in Loop: Header=BB4_326 Depth=2
	v_mov_b32_e32 v14, v15
	s_and_saveexec_b64 s[90:91], s[88:89]
; %bb.348:                              ;   in Loop: Header=BB4_326 Depth=2
	v_cmp_gt_f16_e32 vcc, v11, v15
	v_cndmask_b32_e32 v0, v11, v15, vcc
	s_and_b64 vcc, s[26:27], s[24:25]
	v_cndmask_b32_e32 v0, v0, v31, vcc
	s_or_b64 vcc, s[26:27], s[22:23]
	v_cndmask_b32_e32 v14, v11, v0, vcc
; %bb.349:                              ;   in Loop: Header=BB4_326 Depth=2
	s_or_b64 exec, exec, s[90:91]
.LBB4_350:                              ;   in Loop: Header=BB4_326 Depth=2
	v_lshrrev_b32_e32 v0, 16, v15
	v_lshrrev_b32_e32 v1, 16, v11
	v_and_b32_e32 v11, 0x7fff, v0
	v_cmp_gt_u16_e64 s[22:23], s36, v11
	v_cmp_lt_u16_e64 s[24:25], s35, v11
	v_and_b32_e32 v11, 0x7fff, v1
	v_cmp_lt_u16_e64 s[26:27], s35, v11
	s_and_b64 s[88:89], s[26:27], s[22:23]
	s_mov_b64 s[90:91], -1
	s_xor_b64 s[88:89], s[88:89], -1
	s_and_b64 vcc, exec, s[78:79]
                                        ; implicit-def: $vgpr11
	s_cbranch_vccz .LBB4_354
; %bb.351:                              ;   in Loop: Header=BB4_326 Depth=2
	v_mov_b32_e32 v11, v0
	s_and_saveexec_b64 s[90:91], s[88:89]
; %bb.352:                              ;   in Loop: Header=BB4_326 Depth=2
	v_cmp_gt_f16_e32 vcc, v1, v0
	v_cndmask_b32_e32 v11, v0, v1, vcc
	s_and_b64 vcc, s[26:27], s[24:25]
	v_cndmask_b32_e32 v11, v11, v31, vcc
	s_or_b64 vcc, s[26:27], s[22:23]
	v_cndmask_b32_e32 v11, v1, v11, vcc
; %bb.353:                              ;   in Loop: Header=BB4_326 Depth=2
	s_or_b64 exec, exec, s[90:91]
	s_mov_b64 s[90:91], 0
.LBB4_354:                              ;   in Loop: Header=BB4_326 Depth=2
	s_andn2_b64 vcc, exec, s[90:91]
	s_cbranch_vccnz .LBB4_358
; %bb.355:                              ;   in Loop: Header=BB4_326 Depth=2
	s_and_saveexec_b64 s[90:91], s[88:89]
; %bb.356:                              ;   in Loop: Header=BB4_326 Depth=2
	v_cmp_gt_f16_e32 vcc, v1, v0
	v_cndmask_b32_e32 v0, v1, v0, vcc
	s_and_b64 vcc, s[26:27], s[24:25]
	v_cndmask_b32_e32 v0, v0, v31, vcc
	s_or_b64 vcc, s[26:27], s[22:23]
	v_cndmask_b32_e32 v0, v1, v0, vcc
; %bb.357:                              ;   in Loop: Header=BB4_326 Depth=2
	s_or_b64 exec, exec, s[90:91]
	v_mov_b32_e32 v11, v0
.LBB4_358:                              ;   in Loop: Header=BB4_326 Depth=2
	v_and_b32_e32 v0, 0x7fff, v16
	v_cmp_gt_u16_e64 s[22:23], s36, v0
	v_cmp_lt_u16_e64 s[24:25], s35, v0
	v_and_b32_e32 v0, 0x7fff, v12
	v_cmp_lt_u16_e64 s[26:27], s35, v0
	s_and_b64 s[88:89], s[26:27], s[22:23]
	s_mov_b64 s[90:91], -1
	s_xor_b64 s[88:89], s[88:89], -1
	s_and_b64 vcc, exec, s[78:79]
                                        ; implicit-def: $vgpr15
	s_cbranch_vccz .LBB4_362
; %bb.359:                              ;   in Loop: Header=BB4_326 Depth=2
	v_mov_b32_e32 v15, v16
	s_and_saveexec_b64 s[90:91], s[88:89]
; %bb.360:                              ;   in Loop: Header=BB4_326 Depth=2
	v_cmp_gt_f16_e32 vcc, v12, v16
	v_cndmask_b32_e32 v0, v16, v12, vcc
	s_and_b64 vcc, s[26:27], s[24:25]
	v_cndmask_b32_e32 v0, v0, v31, vcc
	s_or_b64 vcc, s[26:27], s[22:23]
	v_cndmask_b32_e32 v15, v12, v0, vcc
; %bb.361:                              ;   in Loop: Header=BB4_326 Depth=2
	s_or_b64 exec, exec, s[90:91]
	s_mov_b64 s[90:91], 0
.LBB4_362:                              ;   in Loop: Header=BB4_326 Depth=2
	s_andn2_b64 vcc, exec, s[90:91]
	s_cbranch_vccnz .LBB4_366
; %bb.363:                              ;   in Loop: Header=BB4_326 Depth=2
	v_mov_b32_e32 v15, v16
	s_and_saveexec_b64 s[90:91], s[88:89]
; %bb.364:                              ;   in Loop: Header=BB4_326 Depth=2
	v_cmp_gt_f16_e32 vcc, v12, v16
	v_cndmask_b32_e32 v0, v12, v16, vcc
	s_and_b64 vcc, s[26:27], s[24:25]
	v_cndmask_b32_e32 v0, v0, v31, vcc
	s_or_b64 vcc, s[26:27], s[22:23]
	v_cndmask_b32_e32 v15, v12, v0, vcc
; %bb.365:                              ;   in Loop: Header=BB4_326 Depth=2
	s_or_b64 exec, exec, s[90:91]
.LBB4_366:                              ;   in Loop: Header=BB4_326 Depth=2
	v_lshrrev_b32_e32 v0, 16, v16
	v_lshrrev_b32_e32 v1, 16, v12
	v_and_b32_e32 v12, 0x7fff, v0
	v_cmp_gt_u16_e64 s[22:23], s36, v12
	v_cmp_lt_u16_e64 s[24:25], s35, v12
	v_and_b32_e32 v12, 0x7fff, v1
	v_cmp_lt_u16_e64 s[26:27], s35, v12
	s_and_b64 s[88:89], s[26:27], s[22:23]
	s_mov_b64 s[90:91], -1
	s_xor_b64 s[88:89], s[88:89], -1
	s_and_b64 vcc, exec, s[78:79]
                                        ; implicit-def: $vgpr12
	s_cbranch_vccz .LBB4_370
; %bb.367:                              ;   in Loop: Header=BB4_326 Depth=2
	v_mov_b32_e32 v12, v0
	s_and_saveexec_b64 s[90:91], s[88:89]
; %bb.368:                              ;   in Loop: Header=BB4_326 Depth=2
	v_cmp_gt_f16_e32 vcc, v1, v0
	v_cndmask_b32_e32 v12, v0, v1, vcc
	s_and_b64 vcc, s[26:27], s[24:25]
	v_cndmask_b32_e32 v12, v12, v31, vcc
	s_or_b64 vcc, s[26:27], s[22:23]
	v_cndmask_b32_e32 v12, v1, v12, vcc
; %bb.369:                              ;   in Loop: Header=BB4_326 Depth=2
	s_or_b64 exec, exec, s[90:91]
	s_mov_b64 s[90:91], 0
.LBB4_370:                              ;   in Loop: Header=BB4_326 Depth=2
	s_andn2_b64 vcc, exec, s[90:91]
	s_cbranch_vccnz .LBB4_374
; %bb.371:                              ;   in Loop: Header=BB4_326 Depth=2
	s_and_saveexec_b64 s[90:91], s[88:89]
; %bb.372:                              ;   in Loop: Header=BB4_326 Depth=2
	v_cmp_gt_f16_e32 vcc, v1, v0
	v_cndmask_b32_e32 v0, v1, v0, vcc
	s_and_b64 vcc, s[26:27], s[24:25]
	v_cndmask_b32_e32 v0, v0, v31, vcc
	s_or_b64 vcc, s[26:27], s[22:23]
	v_cndmask_b32_e32 v0, v1, v0, vcc
; %bb.373:                              ;   in Loop: Header=BB4_326 Depth=2
	s_or_b64 exec, exec, s[90:91]
	v_mov_b32_e32 v12, v0
.LBB4_374:                              ;   in Loop: Header=BB4_326 Depth=2
	v_and_b32_e32 v0, 0x7fff, v17
	v_cmp_gt_u16_e64 s[22:23], s36, v0
	v_cmp_lt_u16_e64 s[24:25], s35, v0
	v_and_b32_e32 v0, 0x7fff, v13
	v_cmp_lt_u16_e64 s[26:27], s35, v0
	s_and_b64 s[88:89], s[26:27], s[22:23]
	s_mov_b64 s[90:91], -1
	s_xor_b64 s[88:89], s[88:89], -1
	s_and_b64 vcc, exec, s[78:79]
                                        ; implicit-def: $vgpr16
	s_cbranch_vccz .LBB4_378
; %bb.375:                              ;   in Loop: Header=BB4_326 Depth=2
	v_mov_b32_e32 v16, v17
	s_and_saveexec_b64 s[90:91], s[88:89]
; %bb.376:                              ;   in Loop: Header=BB4_326 Depth=2
	v_cmp_gt_f16_e32 vcc, v13, v17
	v_cndmask_b32_e32 v0, v17, v13, vcc
	s_and_b64 vcc, s[26:27], s[24:25]
	v_cndmask_b32_e32 v0, v0, v31, vcc
	s_or_b64 vcc, s[26:27], s[22:23]
	v_cndmask_b32_e32 v16, v13, v0, vcc
; %bb.377:                              ;   in Loop: Header=BB4_326 Depth=2
	s_or_b64 exec, exec, s[90:91]
	s_mov_b64 s[90:91], 0
.LBB4_378:                              ;   in Loop: Header=BB4_326 Depth=2
	s_andn2_b64 vcc, exec, s[90:91]
	s_cbranch_vccnz .LBB4_382
; %bb.379:                              ;   in Loop: Header=BB4_326 Depth=2
	v_mov_b32_e32 v16, v17
	s_and_saveexec_b64 s[90:91], s[88:89]
; %bb.380:                              ;   in Loop: Header=BB4_326 Depth=2
	v_cmp_gt_f16_e32 vcc, v13, v17
	v_cndmask_b32_e32 v0, v13, v17, vcc
	s_and_b64 vcc, s[26:27], s[24:25]
	v_cndmask_b32_e32 v0, v0, v31, vcc
	s_or_b64 vcc, s[26:27], s[22:23]
	v_cndmask_b32_e32 v16, v13, v0, vcc
; %bb.381:                              ;   in Loop: Header=BB4_326 Depth=2
	s_or_b64 exec, exec, s[90:91]
.LBB4_382:                              ;   in Loop: Header=BB4_326 Depth=2
	v_lshrrev_b32_e32 v0, 16, v17
	v_lshrrev_b32_e32 v1, 16, v13
	v_and_b32_e32 v13, 0x7fff, v0
	v_cmp_gt_u16_e64 s[22:23], s36, v13
	v_cmp_lt_u16_e64 s[24:25], s35, v13
	v_and_b32_e32 v13, 0x7fff, v1
	v_cmp_lt_u16_e64 s[26:27], s35, v13
	s_and_b64 s[88:89], s[26:27], s[22:23]
	s_mov_b64 s[90:91], -1
	s_xor_b64 s[88:89], s[88:89], -1
	s_and_b64 vcc, exec, s[78:79]
                                        ; implicit-def: $vgpr13
	s_cbranch_vccz .LBB4_386
; %bb.383:                              ;   in Loop: Header=BB4_326 Depth=2
	v_mov_b32_e32 v13, v0
	s_and_saveexec_b64 s[90:91], s[88:89]
; %bb.384:                              ;   in Loop: Header=BB4_326 Depth=2
	v_cmp_gt_f16_e32 vcc, v1, v0
	v_cndmask_b32_e32 v13, v0, v1, vcc
	s_and_b64 vcc, s[26:27], s[24:25]
	v_cndmask_b32_e32 v13, v13, v31, vcc
	s_or_b64 vcc, s[26:27], s[22:23]
	v_cndmask_b32_e32 v13, v1, v13, vcc
; %bb.385:                              ;   in Loop: Header=BB4_326 Depth=2
	s_or_b64 exec, exec, s[90:91]
	s_mov_b64 s[90:91], 0
.LBB4_386:                              ;   in Loop: Header=BB4_326 Depth=2
	s_andn2_b64 vcc, exec, s[90:91]
	s_cbranch_vccnz .LBB4_325
; %bb.387:                              ;   in Loop: Header=BB4_326 Depth=2
	s_and_saveexec_b64 s[90:91], s[88:89]
	s_cbranch_execz .LBB4_324
; %bb.388:                              ;   in Loop: Header=BB4_326 Depth=2
	v_cmp_gt_f16_e32 vcc, v1, v0
	v_cndmask_b32_e32 v0, v1, v0, vcc
	s_and_b64 vcc, s[26:27], s[24:25]
	v_cndmask_b32_e32 v0, v0, v31, vcc
	s_or_b64 vcc, s[26:27], s[22:23]
	v_cndmask_b32_e32 v0, v1, v0, vcc
	s_branch .LBB4_324
.LBB4_389:                              ;   in Loop: Header=BB4_49 Depth=1
	s_or_b64 exec, exec, s[76:77]
.LBB4_390:                              ;   in Loop: Header=BB4_49 Depth=1
	s_or_b64 exec, exec, s[74:75]
	v_and_b32_e32 v0, 14, v28
	v_cmp_lt_i32_e32 vcc, 0, v46
	v_sub_u32_e32 v1, v45, v0
	v_cndmask_b32_e64 v28, v45, v0, s[20:21]
	v_cndmask_b32_e32 v0, 0, v62, vcc
	v_sub_u32_e32 v0, v0, v46
	buffer_load_dword v56, off, s[0:3], s33 offset:80 ; 4-byte Folded Reload
	buffer_load_dword v45, off, s[0:3], s33 offset:68 ; 4-byte Folded Reload
	;; [unrolled: 1-line block ×3, first 2 shown]
	v_cndmask_b32_e64 v1, 0, v1, s[20:21]
	v_cmp_ne_u32_e32 vcc, 0, v28
	v_add3_u32 v16, v29, v24, v1
	v_lshl_add_u32 v17, v0, 6, v25
	s_and_b64 s[20:21], vcc, exec
.LBB4_391:                              ;   in Loop: Header=BB4_49 Depth=1
	s_or_b64 exec, exec, s[72:73]
	s_and_saveexec_b64 s[72:73], s[20:21]
	s_cbranch_execz .LBB4_504
.LBB4_392:                              ;   in Loop: Header=BB4_49 Depth=1
	v_ashrrev_i32_e32 v0, 31, v17
	v_ashrrev_i32_e32 v1, 31, v28
	v_lshrrev_b32_e32 v0, 26, v0
	v_lshrrev_b32_e32 v1, 22, v1
	v_add_u32_e32 v0, v17, v0
	v_add_u32_e32 v1, v28, v1
	v_ashrrev_i32_e32 v18, 6, v0
	v_ashrrev_i32_e32 v20, 10, v1
	v_sub_u32_e32 v19, v20, v18
	v_cmp_lt_i32_e32 vcc, 0, v19
	s_and_saveexec_b64 s[74:75], vcc
	s_cbranch_execz .LBB4_492
; %bb.393:                              ;   in Loop: Header=BB4_49 Depth=1
	v_and_b32_e32 v0, 0x7fffffc0, v0
	v_sub_u32_e32 v0, v17, v0
	v_lshlrev_b32_e32 v0, 1, v0
	v_lshlrev_b32_e32 v1, 10, v18
	v_add3_u32 v14, v0, v16, v1
	s_trap 2
	ds_read_b64 v[0:1], v0
	v_ashrrev_i32_e32 v15, 31, v14
	v_add_co_u32_e32 v10, vcc, v14, v41
	v_addc_co_u32_e32 v11, vcc, v15, v42, vcc
	s_waitcnt lgkmcnt(0)
	v_add_co_u32_e32 v12, vcc, v0, v14
	v_addc_co_u32_e32 v13, vcc, v1, v15, vcc
	v_add_co_u32_e32 v0, vcc, 0x380, v43
	v_addc_co_u32_e32 v1, vcc, 0, v44, vcc
	s_bitcmp1_b32 s94, 0
	v_add_co_u32_e32 v14, vcc, v0, v14
	s_cselect_b64 s[76:77], -1, 0
	v_addc_co_u32_e32 v15, vcc, v1, v15, vcc
	s_mov_b64 s[78:79], 0
	s_branch .LBB4_397
.LBB4_394:                              ;   in Loop: Header=BB4_397 Depth=2
	s_or_b64 exec, exec, s[24:25]
	v_mov_b32_e32 v22, v21
.LBB4_395:                              ;   in Loop: Header=BB4_397 Depth=2
	s_or_b64 exec, exec, s[88:89]
	v_mov_b32_e32 v0, v22
.LBB4_396:                              ;   in Loop: Header=BB4_397 Depth=2
	v_add_co_u32_e32 v21, vcc, 0xfffffc80, v14
	v_addc_co_u32_e32 v22, vcc, -1, v15, vcc
	flat_store_short v[21:22], v27 glc slc
	v_add_co_u32_e32 v21, vcc, 0xfffffd00, v14
	v_addc_co_u32_e32 v22, vcc, -1, v15, vcc
	flat_store_short v[21:22], v26 glc slc
	;; [unrolled: 3-line block ×6, first 2 shown]
	v_add_co_u32_e32 v21, vcc, 0xffffff80, v14
	v_addc_co_u32_e32 v22, vcc, -1, v15, vcc
	v_add_co_u32_e32 v10, vcc, v10, v47
	v_addc_co_u32_e32 v11, vcc, 0, v11, vcc
	v_add_co_u32_e32 v12, vcc, v12, v47
	v_addc_co_u32_e32 v13, vcc, 0, v13, vcc
	v_sub_u32_e32 v19, v19, v62
	v_cmp_gt_i32_e32 vcc, 1, v19
	flat_store_short v[21:22], v29 glc slc
	flat_store_short v[14:15], v0 glc slc
	s_or_b64 s[78:79], vcc, s[78:79]
	v_add_co_u32_e32 v14, vcc, v14, v47
	v_addc_co_u32_e32 v15, vcc, 0, v15, vcc
	s_andn2_b64 exec, exec, s[78:79]
	s_cbranch_execz .LBB4_491
.LBB4_397:                              ;   Parent Loop BB4_49 Depth=1
                                        ; =>  This Inner Loop Header: Depth=2
	flat_load_ushort v26, v[10:11] glc slc
	s_waitcnt vmcnt(0)
	flat_load_ushort v56, v[10:11] offset:128 glc slc
	flat_load_ushort v50, v[10:11] offset:256 glc slc
	flat_load_ushort v61, v[10:11] offset:384 glc slc
	flat_load_ushort v57, v[10:11] offset:512 glc slc
	flat_load_ushort v45, v[10:11] offset:640 glc slc
	flat_load_ushort v24, v[10:11] offset:768 glc slc
	flat_load_ushort v21, v[10:11] offset:896 glc slc
	flat_load_ushort v23, v[12:13] glc slc
	flat_load_ushort v29, v[12:13] offset:128 glc slc
	flat_load_ushort v51, v[12:13] offset:256 glc slc
	;; [unrolled: 1-line block ×7, first 2 shown]
	s_mov_b64 s[24:25], -1
	s_and_b64 vcc, exec, s[76:77]
                                        ; implicit-def: $vgpr27
	s_waitcnt lgkmcnt(0)
	v_and_b32_e32 v0, 0x7fff, v26
	v_cmp_lt_u16_e64 s[20:21], s35, v0
	s_waitcnt vmcnt(0)
	v_and_b32_e32 v0, 0x7fff, v23
	v_cmp_gt_u16_e64 s[22:23], s36, v0
	s_and_b64 s[26:27], s[20:21], s[22:23]
	s_xor_b64 s[26:27], s[26:27], -1
	s_cbranch_vccz .LBB4_403
; %bb.398:                              ;   in Loop: Header=BB4_397 Depth=2
	v_mov_b32_e32 v27, v23
	s_and_saveexec_b64 s[88:89], s[26:27]
	s_cbranch_execz .LBB4_402
; %bb.399:                              ;   in Loop: Header=BB4_397 Depth=2
	s_or_b64 s[24:25], s[20:21], s[22:23]
	v_mov_b32_e32 v27, v26
	s_and_saveexec_b64 s[90:91], s[24:25]
; %bb.400:                              ;   in Loop: Header=BB4_397 Depth=2
	v_cmp_lt_u16_e32 vcc, s35, v0
	v_cmp_gt_f16_e64 s[24:25], v26, v23
	v_cndmask_b32_e64 v1, v23, v26, s[24:25]
	s_and_b64 vcc, s[20:21], vcc
	v_cndmask_b32_e32 v27, v1, v31, vcc
; %bb.401:                              ;   in Loop: Header=BB4_397 Depth=2
	s_or_b64 exec, exec, s[90:91]
.LBB4_402:                              ;   in Loop: Header=BB4_397 Depth=2
	s_or_b64 exec, exec, s[88:89]
	s_mov_b64 s[24:25], 0
.LBB4_403:                              ;   in Loop: Header=BB4_397 Depth=2
	s_andn2_b64 vcc, exec, s[24:25]
	s_cbranch_vccnz .LBB4_409
; %bb.404:                              ;   in Loop: Header=BB4_397 Depth=2
	s_and_saveexec_b64 s[24:25], s[26:27]
	s_cbranch_execz .LBB4_408
; %bb.405:                              ;   in Loop: Header=BB4_397 Depth=2
	s_or_b64 s[22:23], s[20:21], s[22:23]
	s_and_saveexec_b64 s[26:27], s[22:23]
; %bb.406:                              ;   in Loop: Header=BB4_397 Depth=2
	v_cmp_lt_u16_e32 vcc, s35, v0
	v_cmp_gt_f16_e64 s[22:23], v26, v23
	v_cndmask_b32_e64 v0, v26, v23, s[22:23]
	s_and_b64 vcc, s[20:21], vcc
	v_cndmask_b32_e32 v26, v0, v31, vcc
; %bb.407:                              ;   in Loop: Header=BB4_397 Depth=2
	s_or_b64 exec, exec, s[26:27]
	v_mov_b32_e32 v23, v26
.LBB4_408:                              ;   in Loop: Header=BB4_397 Depth=2
	s_or_b64 exec, exec, s[24:25]
	v_mov_b32_e32 v27, v23
.LBB4_409:                              ;   in Loop: Header=BB4_397 Depth=2
	v_and_b32_e32 v0, 0x7fff, v56
	v_cmp_lt_u16_e64 s[22:23], s35, v0
	v_and_b32_e32 v0, 0x7fff, v29
	v_cmp_gt_u16_e64 s[24:25], s36, v0
	s_and_b64 s[20:21], s[22:23], s[24:25]
	v_cndmask_b32_e64 v1, 0, 1, s[76:77]
	s_mov_b64 s[26:27], -1
	s_xor_b64 s[88:89], s[20:21], -1
	v_cmp_ne_u32_e64 s[20:21], 1, v1
	s_andn2_b64 vcc, exec, s[76:77]
                                        ; implicit-def: $vgpr26
	s_cbranch_vccnz .LBB4_415
; %bb.410:                              ;   in Loop: Header=BB4_397 Depth=2
	v_mov_b32_e32 v26, v29
	s_and_saveexec_b64 s[90:91], s[88:89]
	s_cbranch_execz .LBB4_414
; %bb.411:                              ;   in Loop: Header=BB4_397 Depth=2
	s_or_b64 s[26:27], s[22:23], s[24:25]
	v_mov_b32_e32 v26, v56
	s_and_saveexec_b64 s[92:93], s[26:27]
; %bb.412:                              ;   in Loop: Header=BB4_397 Depth=2
	v_cmp_lt_u16_e32 vcc, s35, v0
	v_cmp_gt_f16_e64 s[26:27], v56, v29
	v_cndmask_b32_e64 v1, v29, v56, s[26:27]
	s_and_b64 vcc, s[22:23], vcc
	v_cndmask_b32_e32 v26, v1, v31, vcc
; %bb.413:                              ;   in Loop: Header=BB4_397 Depth=2
	s_or_b64 exec, exec, s[92:93]
.LBB4_414:                              ;   in Loop: Header=BB4_397 Depth=2
	s_or_b64 exec, exec, s[90:91]
	s_mov_b64 s[26:27], 0
.LBB4_415:                              ;   in Loop: Header=BB4_397 Depth=2
	s_andn2_b64 vcc, exec, s[26:27]
	s_cbranch_vccnz .LBB4_421
; %bb.416:                              ;   in Loop: Header=BB4_397 Depth=2
	s_and_saveexec_b64 s[26:27], s[88:89]
	s_cbranch_execz .LBB4_420
; %bb.417:                              ;   in Loop: Header=BB4_397 Depth=2
	s_or_b64 s[24:25], s[22:23], s[24:25]
	s_and_saveexec_b64 s[88:89], s[24:25]
; %bb.418:                              ;   in Loop: Header=BB4_397 Depth=2
	v_cmp_lt_u16_e32 vcc, s35, v0
	v_cmp_gt_f16_e64 s[24:25], v56, v29
	v_cndmask_b32_e64 v0, v56, v29, s[24:25]
	s_and_b64 vcc, s[22:23], vcc
	v_cndmask_b32_e32 v56, v0, v31, vcc
; %bb.419:                              ;   in Loop: Header=BB4_397 Depth=2
	s_or_b64 exec, exec, s[88:89]
	v_mov_b32_e32 v29, v56
.LBB4_420:                              ;   in Loop: Header=BB4_397 Depth=2
	s_or_b64 exec, exec, s[26:27]
	v_mov_b32_e32 v26, v29
.LBB4_421:                              ;   in Loop: Header=BB4_397 Depth=2
	v_and_b32_e32 v0, 0x7fff, v50
	v_cmp_lt_u16_e64 s[22:23], s35, v0
	v_and_b32_e32 v0, 0x7fff, v51
	v_cmp_gt_u16_e64 s[24:25], s36, v0
	s_and_b64 s[88:89], s[22:23], s[24:25]
	s_mov_b64 s[26:27], -1
	s_and_b64 vcc, exec, s[20:21]
	s_xor_b64 s[88:89], s[88:89], -1
                                        ; implicit-def: $vgpr56
	s_cbranch_vccnz .LBB4_427
; %bb.422:                              ;   in Loop: Header=BB4_397 Depth=2
	v_mov_b32_e32 v56, v51
	s_and_saveexec_b64 s[90:91], s[88:89]
	s_cbranch_execz .LBB4_426
; %bb.423:                              ;   in Loop: Header=BB4_397 Depth=2
	s_or_b64 s[26:27], s[22:23], s[24:25]
	v_mov_b32_e32 v56, v50
	s_and_saveexec_b64 s[92:93], s[26:27]
; %bb.424:                              ;   in Loop: Header=BB4_397 Depth=2
	v_cmp_lt_u16_e32 vcc, s35, v0
	v_cmp_gt_f16_e64 s[26:27], v50, v51
	v_cndmask_b32_e64 v1, v51, v50, s[26:27]
	s_and_b64 vcc, s[22:23], vcc
	v_cndmask_b32_e32 v56, v1, v31, vcc
; %bb.425:                              ;   in Loop: Header=BB4_397 Depth=2
	s_or_b64 exec, exec, s[92:93]
.LBB4_426:                              ;   in Loop: Header=BB4_397 Depth=2
	s_or_b64 exec, exec, s[90:91]
	s_mov_b64 s[26:27], 0
.LBB4_427:                              ;   in Loop: Header=BB4_397 Depth=2
	s_andn2_b64 vcc, exec, s[26:27]
	s_cbranch_vccnz .LBB4_433
; %bb.428:                              ;   in Loop: Header=BB4_397 Depth=2
	s_and_saveexec_b64 s[26:27], s[88:89]
	s_cbranch_execz .LBB4_432
; %bb.429:                              ;   in Loop: Header=BB4_397 Depth=2
	s_or_b64 s[24:25], s[22:23], s[24:25]
	s_and_saveexec_b64 s[88:89], s[24:25]
; %bb.430:                              ;   in Loop: Header=BB4_397 Depth=2
	v_cmp_lt_u16_e32 vcc, s35, v0
	v_cmp_gt_f16_e64 s[24:25], v50, v51
	v_cndmask_b32_e64 v0, v50, v51, s[24:25]
	s_and_b64 vcc, s[22:23], vcc
	v_cndmask_b32_e32 v50, v0, v31, vcc
; %bb.431:                              ;   in Loop: Header=BB4_397 Depth=2
	s_or_b64 exec, exec, s[88:89]
	v_mov_b32_e32 v51, v50
.LBB4_432:                              ;   in Loop: Header=BB4_397 Depth=2
	s_or_b64 exec, exec, s[26:27]
	v_mov_b32_e32 v56, v51
.LBB4_433:                              ;   in Loop: Header=BB4_397 Depth=2
	v_and_b32_e32 v0, 0x7fff, v61
	v_cmp_lt_u16_e64 s[22:23], s35, v0
	v_and_b32_e32 v0, 0x7fff, v59
	v_cmp_gt_u16_e64 s[24:25], s36, v0
	s_and_b64 s[88:89], s[22:23], s[24:25]
	s_mov_b64 s[26:27], -1
	s_and_b64 vcc, exec, s[20:21]
	s_xor_b64 s[88:89], s[88:89], -1
                                        ; implicit-def: $vgpr50
	s_cbranch_vccnz .LBB4_439
; %bb.434:                              ;   in Loop: Header=BB4_397 Depth=2
	v_mov_b32_e32 v50, v59
	s_and_saveexec_b64 s[90:91], s[88:89]
	s_cbranch_execz .LBB4_438
; %bb.435:                              ;   in Loop: Header=BB4_397 Depth=2
	s_or_b64 s[26:27], s[22:23], s[24:25]
	v_mov_b32_e32 v50, v61
	s_and_saveexec_b64 s[92:93], s[26:27]
; %bb.436:                              ;   in Loop: Header=BB4_397 Depth=2
	v_cmp_lt_u16_e32 vcc, s35, v0
	v_cmp_gt_f16_e64 s[26:27], v61, v59
	v_cndmask_b32_e64 v1, v59, v61, s[26:27]
	s_and_b64 vcc, s[22:23], vcc
	v_cndmask_b32_e32 v50, v1, v31, vcc
; %bb.437:                              ;   in Loop: Header=BB4_397 Depth=2
	s_or_b64 exec, exec, s[92:93]
.LBB4_438:                              ;   in Loop: Header=BB4_397 Depth=2
	s_or_b64 exec, exec, s[90:91]
	s_mov_b64 s[26:27], 0
.LBB4_439:                              ;   in Loop: Header=BB4_397 Depth=2
	s_andn2_b64 vcc, exec, s[26:27]
	s_cbranch_vccnz .LBB4_445
; %bb.440:                              ;   in Loop: Header=BB4_397 Depth=2
	s_and_saveexec_b64 s[26:27], s[88:89]
	s_cbranch_execz .LBB4_444
; %bb.441:                              ;   in Loop: Header=BB4_397 Depth=2
	s_or_b64 s[24:25], s[22:23], s[24:25]
	s_and_saveexec_b64 s[88:89], s[24:25]
; %bb.442:                              ;   in Loop: Header=BB4_397 Depth=2
	v_cmp_lt_u16_e32 vcc, s35, v0
	v_cmp_gt_f16_e64 s[24:25], v61, v59
	v_cndmask_b32_e64 v0, v61, v59, s[24:25]
	s_and_b64 vcc, s[22:23], vcc
	v_cndmask_b32_e32 v61, v0, v31, vcc
; %bb.443:                              ;   in Loop: Header=BB4_397 Depth=2
	s_or_b64 exec, exec, s[88:89]
	v_mov_b32_e32 v59, v61
.LBB4_444:                              ;   in Loop: Header=BB4_397 Depth=2
	s_or_b64 exec, exec, s[26:27]
	v_mov_b32_e32 v50, v59
.LBB4_445:                              ;   in Loop: Header=BB4_397 Depth=2
	v_and_b32_e32 v0, 0x7fff, v57
	v_cmp_lt_u16_e64 s[22:23], s35, v0
	v_and_b32_e32 v0, 0x7fff, v58
	v_cmp_gt_u16_e64 s[24:25], s36, v0
	s_and_b64 s[88:89], s[22:23], s[24:25]
	s_mov_b64 s[26:27], -1
	s_and_b64 vcc, exec, s[20:21]
	s_xor_b64 s[88:89], s[88:89], -1
                                        ; implicit-def: $vgpr51
	s_cbranch_vccnz .LBB4_451
; %bb.446:                              ;   in Loop: Header=BB4_397 Depth=2
	v_mov_b32_e32 v51, v58
	s_and_saveexec_b64 s[90:91], s[88:89]
	s_cbranch_execz .LBB4_450
; %bb.447:                              ;   in Loop: Header=BB4_397 Depth=2
	s_or_b64 s[26:27], s[22:23], s[24:25]
	v_mov_b32_e32 v51, v57
	s_and_saveexec_b64 s[92:93], s[26:27]
; %bb.448:                              ;   in Loop: Header=BB4_397 Depth=2
	v_cmp_lt_u16_e32 vcc, s35, v0
	v_cmp_gt_f16_e64 s[26:27], v57, v58
	v_cndmask_b32_e64 v1, v58, v57, s[26:27]
	s_and_b64 vcc, s[22:23], vcc
	v_cndmask_b32_e32 v51, v1, v31, vcc
; %bb.449:                              ;   in Loop: Header=BB4_397 Depth=2
	s_or_b64 exec, exec, s[92:93]
.LBB4_450:                              ;   in Loop: Header=BB4_397 Depth=2
	s_or_b64 exec, exec, s[90:91]
	s_mov_b64 s[26:27], 0
.LBB4_451:                              ;   in Loop: Header=BB4_397 Depth=2
	s_andn2_b64 vcc, exec, s[26:27]
	s_cbranch_vccnz .LBB4_457
; %bb.452:                              ;   in Loop: Header=BB4_397 Depth=2
	s_and_saveexec_b64 s[26:27], s[88:89]
	s_cbranch_execz .LBB4_456
; %bb.453:                              ;   in Loop: Header=BB4_397 Depth=2
	s_or_b64 s[24:25], s[22:23], s[24:25]
	s_and_saveexec_b64 s[88:89], s[24:25]
; %bb.454:                              ;   in Loop: Header=BB4_397 Depth=2
	v_cmp_lt_u16_e32 vcc, s35, v0
	v_cmp_gt_f16_e64 s[24:25], v57, v58
	v_cndmask_b32_e64 v0, v57, v58, s[24:25]
	s_and_b64 vcc, s[22:23], vcc
	v_cndmask_b32_e32 v57, v0, v31, vcc
; %bb.455:                              ;   in Loop: Header=BB4_397 Depth=2
	s_or_b64 exec, exec, s[88:89]
	v_mov_b32_e32 v58, v57
.LBB4_456:                              ;   in Loop: Header=BB4_397 Depth=2
	s_or_b64 exec, exec, s[26:27]
	v_mov_b32_e32 v51, v58
.LBB4_457:                              ;   in Loop: Header=BB4_397 Depth=2
	v_and_b32_e32 v0, 0x7fff, v45
	v_cmp_lt_u16_e64 s[22:23], s35, v0
	v_and_b32_e32 v0, 0x7fff, v46
	v_cmp_gt_u16_e64 s[24:25], s36, v0
	s_and_b64 s[88:89], s[22:23], s[24:25]
	s_mov_b64 s[26:27], -1
	s_and_b64 vcc, exec, s[20:21]
	s_xor_b64 s[88:89], s[88:89], -1
                                        ; implicit-def: $vgpr57
	s_cbranch_vccnz .LBB4_463
; %bb.458:                              ;   in Loop: Header=BB4_397 Depth=2
	v_mov_b32_e32 v57, v46
	s_and_saveexec_b64 s[90:91], s[88:89]
	s_cbranch_execz .LBB4_462
; %bb.459:                              ;   in Loop: Header=BB4_397 Depth=2
	s_or_b64 s[26:27], s[22:23], s[24:25]
	v_mov_b32_e32 v57, v45
	s_and_saveexec_b64 s[92:93], s[26:27]
; %bb.460:                              ;   in Loop: Header=BB4_397 Depth=2
	v_cmp_lt_u16_e32 vcc, s35, v0
	v_cmp_gt_f16_e64 s[26:27], v45, v46
	v_cndmask_b32_e64 v1, v46, v45, s[26:27]
	s_and_b64 vcc, s[22:23], vcc
	v_cndmask_b32_e32 v57, v1, v31, vcc
; %bb.461:                              ;   in Loop: Header=BB4_397 Depth=2
	s_or_b64 exec, exec, s[92:93]
.LBB4_462:                              ;   in Loop: Header=BB4_397 Depth=2
	s_or_b64 exec, exec, s[90:91]
	s_mov_b64 s[26:27], 0
.LBB4_463:                              ;   in Loop: Header=BB4_397 Depth=2
	s_andn2_b64 vcc, exec, s[26:27]
	s_cbranch_vccnz .LBB4_469
; %bb.464:                              ;   in Loop: Header=BB4_397 Depth=2
	s_and_saveexec_b64 s[26:27], s[88:89]
	s_cbranch_execz .LBB4_468
; %bb.465:                              ;   in Loop: Header=BB4_397 Depth=2
	s_or_b64 s[24:25], s[22:23], s[24:25]
	s_and_saveexec_b64 s[88:89], s[24:25]
; %bb.466:                              ;   in Loop: Header=BB4_397 Depth=2
	v_cmp_lt_u16_e32 vcc, s35, v0
	v_cmp_gt_f16_e64 s[24:25], v45, v46
	v_cndmask_b32_e64 v0, v45, v46, s[24:25]
	s_and_b64 vcc, s[22:23], vcc
	v_cndmask_b32_e32 v45, v0, v31, vcc
; %bb.467:                              ;   in Loop: Header=BB4_397 Depth=2
	s_or_b64 exec, exec, s[88:89]
	v_mov_b32_e32 v46, v45
.LBB4_468:                              ;   in Loop: Header=BB4_397 Depth=2
	s_or_b64 exec, exec, s[26:27]
	v_mov_b32_e32 v57, v46
.LBB4_469:                              ;   in Loop: Header=BB4_397 Depth=2
	v_and_b32_e32 v0, 0x7fff, v24
	v_cmp_lt_u16_e64 s[22:23], s35, v0
	v_and_b32_e32 v0, 0x7fff, v25
	v_cmp_gt_u16_e64 s[24:25], s36, v0
	s_and_b64 s[88:89], s[22:23], s[24:25]
	s_mov_b64 s[26:27], -1
	s_and_b64 vcc, exec, s[20:21]
	s_xor_b64 s[88:89], s[88:89], -1
                                        ; implicit-def: $vgpr29
	s_cbranch_vccnz .LBB4_475
; %bb.470:                              ;   in Loop: Header=BB4_397 Depth=2
	v_mov_b32_e32 v29, v25
	s_and_saveexec_b64 s[90:91], s[88:89]
	s_cbranch_execz .LBB4_474
; %bb.471:                              ;   in Loop: Header=BB4_397 Depth=2
	s_or_b64 s[26:27], s[22:23], s[24:25]
	v_mov_b32_e32 v29, v24
	s_and_saveexec_b64 s[92:93], s[26:27]
; %bb.472:                              ;   in Loop: Header=BB4_397 Depth=2
	v_cmp_lt_u16_e32 vcc, s35, v0
	v_cmp_gt_f16_e64 s[26:27], v24, v25
	v_cndmask_b32_e64 v1, v25, v24, s[26:27]
	s_and_b64 vcc, s[22:23], vcc
	v_cndmask_b32_e32 v29, v1, v31, vcc
; %bb.473:                              ;   in Loop: Header=BB4_397 Depth=2
	s_or_b64 exec, exec, s[92:93]
.LBB4_474:                              ;   in Loop: Header=BB4_397 Depth=2
	s_or_b64 exec, exec, s[90:91]
	s_mov_b64 s[26:27], 0
.LBB4_475:                              ;   in Loop: Header=BB4_397 Depth=2
	s_andn2_b64 vcc, exec, s[26:27]
	s_cbranch_vccnz .LBB4_481
; %bb.476:                              ;   in Loop: Header=BB4_397 Depth=2
	s_and_saveexec_b64 s[26:27], s[88:89]
	s_cbranch_execz .LBB4_480
; %bb.477:                              ;   in Loop: Header=BB4_397 Depth=2
	s_or_b64 s[24:25], s[22:23], s[24:25]
	s_and_saveexec_b64 s[88:89], s[24:25]
; %bb.478:                              ;   in Loop: Header=BB4_397 Depth=2
	v_cmp_lt_u16_e32 vcc, s35, v0
	v_cmp_gt_f16_e64 s[24:25], v24, v25
	v_cndmask_b32_e64 v0, v24, v25, s[24:25]
	s_and_b64 vcc, s[22:23], vcc
	v_cndmask_b32_e32 v24, v0, v31, vcc
; %bb.479:                              ;   in Loop: Header=BB4_397 Depth=2
	s_or_b64 exec, exec, s[88:89]
	v_mov_b32_e32 v25, v24
.LBB4_480:                              ;   in Loop: Header=BB4_397 Depth=2
	s_or_b64 exec, exec, s[26:27]
	v_mov_b32_e32 v29, v25
.LBB4_481:                              ;   in Loop: Header=BB4_397 Depth=2
	v_and_b32_e32 v0, 0x7fff, v21
	v_and_b32_e32 v1, 0x7fff, v22
	v_cmp_lt_u16_e64 s[22:23], s35, v0
	v_cmp_gt_u16_e64 s[24:25], s36, v1
	s_and_b64 s[26:27], s[22:23], s[24:25]
	s_mov_b64 s[88:89], -1
	s_and_b64 vcc, exec, s[20:21]
	s_xor_b64 s[26:27], s[26:27], -1
                                        ; implicit-def: $vgpr0
	s_cbranch_vccnz .LBB4_487
; %bb.482:                              ;   in Loop: Header=BB4_397 Depth=2
	v_mov_b32_e32 v0, v22
	s_and_saveexec_b64 s[88:89], s[26:27]
	s_cbranch_execz .LBB4_486
; %bb.483:                              ;   in Loop: Header=BB4_397 Depth=2
	s_or_b64 s[20:21], s[22:23], s[24:25]
	v_mov_b32_e32 v0, v21
	s_and_saveexec_b64 s[90:91], s[20:21]
; %bb.484:                              ;   in Loop: Header=BB4_397 Depth=2
	v_cmp_lt_u16_e32 vcc, s35, v1
	v_cmp_gt_f16_e64 s[20:21], v21, v22
	v_cndmask_b32_e64 v0, v22, v21, s[20:21]
	s_and_b64 vcc, s[22:23], vcc
	v_cndmask_b32_e32 v0, v0, v31, vcc
; %bb.485:                              ;   in Loop: Header=BB4_397 Depth=2
	s_or_b64 exec, exec, s[90:91]
.LBB4_486:                              ;   in Loop: Header=BB4_397 Depth=2
	s_or_b64 exec, exec, s[88:89]
	s_mov_b64 s[88:89], 0
.LBB4_487:                              ;   in Loop: Header=BB4_397 Depth=2
	s_andn2_b64 vcc, exec, s[88:89]
	s_cbranch_vccnz .LBB4_396
; %bb.488:                              ;   in Loop: Header=BB4_397 Depth=2
	s_and_saveexec_b64 s[88:89], s[26:27]
	s_cbranch_execz .LBB4_395
; %bb.489:                              ;   in Loop: Header=BB4_397 Depth=2
	s_or_b64 s[20:21], s[22:23], s[24:25]
	s_and_saveexec_b64 s[24:25], s[20:21]
	s_cbranch_execz .LBB4_394
; %bb.490:                              ;   in Loop: Header=BB4_397 Depth=2
	v_cmp_lt_u16_e32 vcc, s35, v1
	v_cmp_gt_f16_e64 s[20:21], v21, v22
	v_cndmask_b32_e64 v0, v21, v22, s[20:21]
	s_and_b64 vcc, s[22:23], vcc
	v_cndmask_b32_e32 v21, v0, v31, vcc
	s_branch .LBB4_394
.LBB4_491:                              ;   in Loop: Header=BB4_49 Depth=1
	s_or_b64 exec, exec, s[78:79]
	buffer_load_dword v56, off, s[0:3], s33 offset:80 ; 4-byte Folded Reload
	buffer_load_dword v45, off, s[0:3], s33 offset:68 ; 4-byte Folded Reload
	;; [unrolled: 1-line block ×6, first 2 shown]
	v_mov_b32_e32 v51, 1
	v_mov_b32_e32 v26, 0xc8
	;; [unrolled: 1-line block ×3, first 2 shown]
.LBB4_492:                              ;   in Loop: Header=BB4_49 Depth=1
	s_or_b64 exec, exec, s[74:75]
	v_lshlrev_b32_e32 v0, 10, v20
	v_cmp_ne_u32_e32 vcc, v28, v0
	s_and_b64 exec, exec, vcc
	s_cbranch_execz .LBB4_504
; %bb.493:                              ;   in Loop: Header=BB4_49 Depth=1
	v_lshlrev_b32_e32 v1, 6, v18
	v_sub_u32_e32 v1, v17, v1
	v_lshlrev_b32_e32 v10, 6, v19
	v_sub_u32_e32 v1, v1, v10
	v_ashrrev_i32_e32 v10, 31, v1
	v_lshrrev_b32_e32 v10, 26, v10
	v_add_u32_e32 v10, v1, v10
	v_and_b32_e32 v11, 0x7fffffc0, v10
	v_sub_u32_e32 v1, v1, v11
	v_lshlrev_b32_e32 v10, 1, v10
	v_and_b32_e32 v10, 0xffffff80, v10
	v_lshlrev_b32_e32 v1, 1, v1
	v_add3_u32 v0, v10, v1, v0
	v_sub_u32_e32 v17, v28, v0
	v_cmp_lt_i32_e32 vcc, 1, v17
	s_and_b64 exec, exec, vcc
	s_cbranch_execz .LBB4_504
; %bb.494:                              ;   in Loop: Header=BB4_49 Depth=1
	v_add_u32_e32 v14, v0, v16
	s_trap 2
	ds_read_b64 v[0:1], v0
	v_ashrrev_i32_e32 v15, 31, v14
	v_add_co_u32_e32 v10, vcc, v14, v41
	v_addc_co_u32_e32 v11, vcc, v15, v42, vcc
	s_waitcnt lgkmcnt(0)
	v_add_co_u32_e32 v12, vcc, v0, v14
	v_addc_co_u32_e32 v13, vcc, v1, v15, vcc
	v_add_co_u32_e32 v14, vcc, v14, v43
	s_bitcmp1_b32 s94, 0
	v_addc_co_u32_e32 v15, vcc, v15, v44, vcc
	s_mov_b64 s[26:27], 0
	s_cselect_b64 s[74:75], -1, 0
	s_branch .LBB4_497
.LBB4_495:                              ;   in Loop: Header=BB4_497 Depth=2
	s_or_b64 exec, exec, s[78:79]
	v_mov_b32_e32 v16, v0
.LBB4_496:                              ;   in Loop: Header=BB4_497 Depth=2
	v_add_co_u32_e32 v10, vcc, v10, v2
	v_addc_co_u32_e32 v11, vcc, 0, v11, vcc
	v_add_co_u32_e32 v12, vcc, v12, v2
	v_addc_co_u32_e32 v13, vcc, 0, v13, vcc
	v_sub_u32_e32 v17, v17, v2
	v_cmp_gt_i32_e32 vcc, 2, v17
	flat_store_short v[14:15], v16 glc slc
	s_or_b64 s[26:27], vcc, s[26:27]
	v_add_co_u32_e32 v14, vcc, v14, v2
	v_addc_co_u32_e32 v15, vcc, 0, v15, vcc
	s_andn2_b64 exec, exec, s[26:27]
	s_cbranch_execz .LBB4_504
.LBB4_497:                              ;   Parent Loop BB4_49 Depth=1
                                        ; =>  This Inner Loop Header: Depth=2
	flat_load_ushort v0, v[12:13] glc slc
	flat_load_ushort v1, v[10:11] glc slc
	s_mov_b64 s[78:79], -1
	s_and_b64 vcc, exec, s[74:75]
                                        ; implicit-def: $vgpr16
	s_waitcnt vmcnt(0) lgkmcnt(0)
	v_and_b32_e32 v18, 0x7fff, v0
	v_and_b32_e32 v19, 0x7fff, v1
	v_cmp_gt_u16_e64 s[20:21], s36, v18
	v_cmp_lt_u16_e64 s[22:23], s35, v19
	s_and_b64 s[76:77], s[22:23], s[20:21]
	v_cmp_lt_u16_e64 s[24:25], s35, v18
	s_xor_b64 s[76:77], s[76:77], -1
	s_cbranch_vccz .LBB4_501
; %bb.498:                              ;   in Loop: Header=BB4_497 Depth=2
	v_mov_b32_e32 v16, v0
	s_and_saveexec_b64 s[78:79], s[76:77]
; %bb.499:                              ;   in Loop: Header=BB4_497 Depth=2
	v_cmp_gt_f16_e32 vcc, v1, v0
	v_cndmask_b32_e32 v16, v0, v1, vcc
	s_and_b64 vcc, s[22:23], s[24:25]
	v_cndmask_b32_e32 v16, v16, v31, vcc
	s_or_b64 vcc, s[22:23], s[20:21]
	v_cndmask_b32_e32 v16, v1, v16, vcc
; %bb.500:                              ;   in Loop: Header=BB4_497 Depth=2
	s_or_b64 exec, exec, s[78:79]
	s_mov_b64 s[78:79], 0
.LBB4_501:                              ;   in Loop: Header=BB4_497 Depth=2
	s_andn2_b64 vcc, exec, s[78:79]
	s_cbranch_vccnz .LBB4_496
; %bb.502:                              ;   in Loop: Header=BB4_497 Depth=2
	s_and_saveexec_b64 s[78:79], s[76:77]
	s_cbranch_execz .LBB4_495
; %bb.503:                              ;   in Loop: Header=BB4_497 Depth=2
	v_cmp_gt_f16_e32 vcc, v1, v0
	v_cndmask_b32_e32 v0, v1, v0, vcc
	s_and_b64 vcc, s[22:23], s[24:25]
	v_cndmask_b32_e32 v0, v0, v31, vcc
	s_or_b64 vcc, s[22:23], s[20:21]
	v_cndmask_b32_e32 v0, v1, v0, vcc
	s_branch .LBB4_495
.LBB4_504:                              ;   in Loop: Header=BB4_49 Depth=1
	s_or_b64 exec, exec, s[72:73]
	v_cmp_ne_u32_e64 s[20:21], 0, v53
	s_and_saveexec_b64 s[22:23], s[10:11]
	s_cbranch_execz .LBB4_523
.LBB4_505:                              ;   in Loop: Header=BB4_49 Depth=1
	s_and_saveexec_b64 s[24:25], s[46:47]
	s_xor_b64 s[24:25], exec, s[24:25]
	s_cbranch_execz .LBB4_520
; %bb.506:                              ;   in Loop: Header=BB4_49 Depth=1
	s_and_saveexec_b64 s[26:27], s[12:13]
	s_cbranch_execz .LBB4_519
; %bb.507:                              ;   in Loop: Header=BB4_49 Depth=1
	s_mov_b64 s[74:75], exec
	v_mbcnt_lo_u32_b32 v0, s74, 0
	v_mbcnt_hi_u32_b32 v0, s75, v0
	v_cmp_eq_u32_e32 vcc, 0, v0
	s_waitcnt vmcnt(0) lgkmcnt(0)
	buffer_wbinvl1_vol
	s_and_saveexec_b64 s[72:73], vcc
	s_cbranch_execz .LBB4_509
; %bb.508:                              ;   in Loop: Header=BB4_49 Depth=1
	s_bcnt1_i32_b64 s74, s[74:75]
	v_mov_b32_e32 v0, s74
	v_mov_b32_e32 v1, v52
	ds_add_u64 v0, v[0:1]
	s_trap 2
.LBB4_509:                              ;   in Loop: Header=BB4_49 Depth=1
	s_or_b64 exec, exec, s[72:73]
	s_trap 2
	ds_read_b64 v[0:1], v0
	s_waitcnt lgkmcnt(0)
	v_add_co_u32_e32 v36, vcc, v36, v62
	v_addc_co_u32_e32 v37, vcc, 0, v37, vcc
	v_cmp_lt_u64_e32 vcc, v[0:1], v[36:37]
	s_and_saveexec_b64 s[72:73], vcc
	s_cbranch_execz .LBB4_518
; %bb.510:                              ;   in Loop: Header=BB4_49 Depth=1
	s_mov_b32 s94, 0
	s_mov_b64 s[74:75], 0
                                        ; implicit-def: $sgpr76_sgpr77
                                        ; implicit-def: $sgpr78_sgpr79
	s_branch .LBB4_512
.LBB4_511:                              ;   in Loop: Header=BB4_512 Depth=2
	s_or_b64 exec, exec, s[90:91]
	s_and_b64 s[88:89], exec, s[92:93]
	s_or_b64 s[74:75], s[88:89], s[74:75]
	s_andn2_b64 s[76:77], s[76:77], exec
	s_and_b64 s[88:89], s[78:79], exec
	s_or_b64 s[76:77], s[76:77], s[88:89]
	s_andn2_b64 exec, exec, s[74:75]
	s_cbranch_execz .LBB4_516
.LBB4_512:                              ;   Parent Loop BB4_49 Depth=1
                                        ; =>  This Inner Loop Header: Depth=2
	s_add_i32 s94, s94, 1
	s_cmpk_lg_i32 s94, 0x2710
	s_cselect_b64 s[88:89], -1, 0
	s_and_b64 vcc, exec, s[88:89]
	s_cbranch_vccz .LBB4_514
; %bb.513:                              ;   in Loop: Header=BB4_512 Depth=2
	s_mov_b64 s[92:93], -1
	s_or_b64 s[78:79], s[78:79], exec
	s_and_saveexec_b64 s[90:91], s[88:89]
	s_cbranch_execz .LBB4_511
	s_branch .LBB4_515
.LBB4_514:                              ;   in Loop: Header=BB4_512 Depth=2
	s_trap 2
	ds_read_b64 v[0:1], v0
	s_andn2_b64 s[88:89], s[88:89], exec
	s_mov_b32 s94, 0
	s_waitcnt lgkmcnt(0)
	flat_load_dword v0, v[0:1] glc
	s_waitcnt vmcnt(0) lgkmcnt(0)
	buffer_wbinvl1_vol
	v_cmp_eq_u32_e32 vcc, 0, v0
	s_and_b64 s[90:91], vcc, exec
	s_or_b64 s[88:89], s[88:89], s[90:91]
	s_mov_b64 s[92:93], -1
	s_or_b64 s[78:79], s[78:79], exec
	s_and_saveexec_b64 s[90:91], s[88:89]
	s_cbranch_execz .LBB4_511
.LBB4_515:                              ;   in Loop: Header=BB4_512 Depth=2
	s_sleep 1
	s_trap 2
	ds_read_b64 v[0:1], v0
	s_waitcnt lgkmcnt(0)
	s_andn2_b64 s[78:79], s[78:79], exec
	v_cmp_ge_u64_e32 vcc, v[0:1], v[36:37]
	s_orn2_b64 s[92:93], vcc, exec
	s_branch .LBB4_511
.LBB4_516:                              ;   in Loop: Header=BB4_49 Depth=1
	s_or_b64 exec, exec, s[74:75]
	s_and_saveexec_b64 s[74:75], s[76:77]
	s_xor_b64 s[74:75], exec, s[74:75]
	s_cbranch_execz .LBB4_518
; %bb.517:                              ;   in Loop: Header=BB4_49 Depth=1
	ds_write_b32 v0, v51
	s_trap 2
.LBB4_518:                              ;   in Loop: Header=BB4_49 Depth=1
	s_or_b64 exec, exec, s[72:73]
	;;#ASMSTART
	s_wakeup
	;;#ASMEND
.LBB4_519:                              ;   in Loop: Header=BB4_49 Depth=1
	s_or_b64 exec, exec, s[26:27]
.LBB4_520:                              ;   in Loop: Header=BB4_49 Depth=1
	s_andn2_saveexec_b64 s[24:25], s[24:25]
	s_cbranch_execz .LBB4_522
; %bb.521:                              ;   in Loop: Header=BB4_49 Depth=1
	s_waitcnt vmcnt(0) lgkmcnt(0)
	buffer_wbinvl1_vol
	s_barrier
.LBB4_522:                              ;   in Loop: Header=BB4_49 Depth=1
	s_or_b64 exec, exec, s[24:25]
.LBB4_523:                              ;   in Loop: Header=BB4_49 Depth=1
	s_or_b64 exec, exec, s[22:23]
	v_and_b32_e32 v0, 16, v60
	v_cmp_ne_u32_e32 vcc, 0, v0
	s_and_b64 s[22:23], vcc, s[20:21]
	s_and_saveexec_b64 s[20:21], s[22:23]
	s_cbranch_execz .LBB4_525
; %bb.524:                              ;   in Loop: Header=BB4_49 Depth=1
	s_waitcnt vmcnt(0) lgkmcnt(0)
	buffer_wbinvl1_vol
.LBB4_525:                              ;   in Loop: Header=BB4_49 Depth=1
	s_or_b64 exec, exec, s[20:21]
	v_cmp_ne_u32_e32 vcc, 0, v0
	s_xor_b64 s[20:21], s[18:19], -1
	s_and_b64 s[22:23], vcc, s[20:21]
	s_and_saveexec_b64 s[20:21], s[22:23]
	s_cbranch_execz .LBB4_527
; %bb.526:                              ;   in Loop: Header=BB4_49 Depth=1
	buffer_load_dword v0, off, s[0:3], s33 offset:60 ; 4-byte Folded Reload
	buffer_load_dword v1, off, s[0:3], s33 offset:64 ; 4-byte Folded Reload
	s_waitcnt vmcnt(0)
	flat_store_dword v[0:1], v51
.LBB4_527:                              ;   in Loop: Header=BB4_49 Depth=1
	s_or_b64 exec, exec, s[20:21]
	v_and_b32_e32 v0, 48, v60
	v_cmp_ne_u32_e32 vcc, 0, v0
	s_and_saveexec_b64 s[20:21], vcc
	s_cbranch_execz .LBB4_529
; %bb.528:                              ;   in Loop: Header=BB4_49 Depth=1
	v_add_co_u32_e32 v8, vcc, 1, v8
	v_addc_co_u32_e32 v9, vcc, 0, v9, vcc
	flat_store_dwordx2 v[32:33], v[8:9]
.LBB4_529:                              ;   in Loop: Header=BB4_49 Depth=1
	s_or_b64 exec, exec, s[20:21]
	v_mov_b32_e32 v0, v30
.LBB4_530:                              ;   in Loop: Header=BB4_49 Depth=1
	s_or_b64 exec, exec, s[62:63]
	s_and_saveexec_b64 s[22:23], s[60:61]
	s_cbranch_execz .LBB4_48
; %bb.531:                              ;   in Loop: Header=BB4_49 Depth=1
	v_sub_u32_e32 v0, v40, v0
	v_min_i32_e32 v10, v30, v0
	v_and_b32_e32 v0, 12, v60
	v_cmp_ne_u32_e32 vcc, 0, v0
	s_and_saveexec_b64 s[24:25], vcc
	s_cbranch_execz .LBB4_557
; %bb.532:                              ;   in Loop: Header=BB4_49 Depth=1
	v_and_b32_e32 v16, 8, v60
	s_waitcnt vmcnt(0)
	v_add_co_u32_e32 v0, vcc, v38, v16
	v_addc_co_u32_e32 v1, vcc, 0, v39, vcc
	s_waitcnt lgkmcnt(0)
	v_add_co_u32_e32 v12, vcc, 1, v8
	v_addc_co_u32_e32 v13, vcc, 0, v9, vcc
	v_cmp_lt_u64_e32 vcc, v[0:1], v[12:13]
	s_and_saveexec_b64 s[26:27], vcc
	s_cbranch_execz .LBB4_544
; %bb.533:                              ;   in Loop: Header=BB4_49 Depth=1
	v_and_b32_e32 v0, 64, v60
	s_mov_b32 s94, 0
	v_cmp_eq_u32_e32 vcc, 0, v0
	s_mov_b64 s[60:61], 0
                                        ; implicit-def: $sgpr62_sgpr63
                                        ; implicit-def: $sgpr72_sgpr73
                                        ; implicit-def: $sgpr74_sgpr75
	s_branch .LBB4_537
.LBB4_534:                              ;   in Loop: Header=BB4_537 Depth=2
	s_waitcnt vmcnt(0) lgkmcnt(0)
	v_add_co_u32_e64 v14, s[20:21], v38, v16
	v_addc_co_u32_e64 v15, s[20:21], 0, v39, s[20:21]
	v_cmp_ge_u64_e64 s[20:21], v[14:15], v[12:13]
	s_or_b64 s[88:89], s[88:89], exec
	s_orn2_b64 s[78:79], s[20:21], exec
.LBB4_535:                              ;   in Loop: Header=BB4_537 Depth=2
	s_or_b64 exec, exec, s[92:93]
	s_andn2_b64 s[20:21], s[74:75], exec
	s_and_b64 s[74:75], s[88:89], exec
	s_or_b64 s[74:75], s[20:21], s[74:75]
	s_andn2_b64 s[20:21], s[72:73], exec
	s_and_b64 s[72:73], s[78:79], exec
	s_or_b64 s[72:73], s[20:21], s[72:73]
.LBB4_536:                              ;   in Loop: Header=BB4_537 Depth=2
	s_or_b64 exec, exec, s[76:77]
	s_and_b64 s[20:21], exec, s[72:73]
	s_or_b64 s[60:61], s[20:21], s[60:61]
	s_andn2_b64 s[20:21], s[62:63], exec
	s_and_b64 s[62:63], s[74:75], exec
	s_or_b64 s[62:63], s[20:21], s[62:63]
	s_andn2_b64 exec, exec, s[60:61]
	s_cbranch_execz .LBB4_541
.LBB4_537:                              ;   Parent Loop BB4_49 Depth=1
                                        ; =>  This Inner Loop Header: Depth=2
	s_sleep 1
	s_waitcnt vmcnt(0) lgkmcnt(0)
	flat_load_dwordx2 v[38:39], v[32:33] glc
	s_or_b64 s[74:75], s[74:75], exec
	s_or_b64 s[72:73], s[72:73], exec
                                        ; implicit-def: $vgpr0
	s_and_saveexec_b64 s[76:77], vcc
	s_cbranch_execz .LBB4_536
; %bb.538:                              ;   in Loop: Header=BB4_537 Depth=2
	s_cmpk_lt_i32 s94, 0x270f
	s_cselect_b64 s[90:91], -1, 0
	s_cmpk_gt_i32 s94, 0x270e
	s_mov_b64 s[78:79], -1
	s_cbranch_scc0 .LBB4_540
; %bb.539:                              ;   in Loop: Header=BB4_537 Depth=2
	s_trap 2
	ds_read_b64 v[0:1], v0
	s_andn2_b64 s[90:91], s[90:91], exec
	s_mov_b32 s94, 0
	s_mov_b64 s[88:89], 0
	s_waitcnt vmcnt(0) lgkmcnt(0)
	flat_load_dword v0, v[0:1] glc
	s_waitcnt vmcnt(0) lgkmcnt(0)
	buffer_wbinvl1_vol
	v_cmp_eq_u32_e64 s[20:21], 0, v0
	s_and_b64 s[20:21], s[20:21], exec
	s_or_b64 s[90:91], s[90:91], s[20:21]
	s_and_saveexec_b64 s[92:93], s[90:91]
	s_cbranch_execz .LBB4_535
	s_branch .LBB4_534
.LBB4_540:                              ;   in Loop: Header=BB4_537 Depth=2
	s_add_i32 s94, s94, 1
	s_mov_b64 s[88:89], -1
                                        ; implicit-def: $vgpr0
	s_and_saveexec_b64 s[92:93], s[90:91]
	s_cbranch_execz .LBB4_535
	s_branch .LBB4_534
.LBB4_541:                              ;   in Loop: Header=BB4_49 Depth=1
	s_or_b64 exec, exec, s[60:61]
	s_xor_b64 s[20:21], s[62:63], -1
	s_and_saveexec_b64 s[60:61], s[20:21]
	s_xor_b64 s[20:21], exec, s[60:61]
	s_cbranch_execz .LBB4_543
; %bb.542:                              ;   in Loop: Header=BB4_49 Depth=1
	v_or_b32_e32 v60, 64, v60
	s_waitcnt lgkmcnt(0)
	ds_write_b32 v0, v0
	s_trap 2
.LBB4_543:                              ;   in Loop: Header=BB4_49 Depth=1
	s_or_b64 exec, exec, s[20:21]
.LBB4_544:                              ;   in Loop: Header=BB4_49 Depth=1
	s_or_b64 exec, exec, s[26:27]
	v_and_b32_e32 v0, 0x108, v60
	v_cmp_ne_u32_e32 vcc, s34, v0
	v_and_b32_e32 v0, 7, v8
	;;#ASMSTART
	s_wakeup
	;;#ASMEND
	s_and_saveexec_b64 s[20:21], vcc
	s_xor_b64 s[20:21], exec, s[20:21]
                                        ; implicit-def: $vgpr1
; %bb.545:                              ;   in Loop: Header=BB4_49 Depth=1
	v_mov_b32_e32 v1, v52
; %bb.546:                              ;   in Loop: Header=BB4_49 Depth=1
	s_andn2_saveexec_b64 s[20:21], s[20:21]
	s_cbranch_execz .LBB4_548
; %bb.547:                              ;   in Loop: Header=BB4_49 Depth=1
	v_mad_u64_u32 v[8:9], s[26:27], v0, 24, v[6:7]
	v_ashrrev_i32_e32 v11, 31, v10
	v_lshlrev_b64 v[14:15], 1, v[10:11]
	v_mov_b32_e32 v1, v52
	flat_store_dwordx2 v[8:9], v[14:15] offset:8
.LBB4_548:                              ;   in Loop: Header=BB4_49 Depth=1
	s_or_b64 exec, exec, s[20:21]
	v_and_b32_e32 v8, 0x100, v60
	v_cmp_ne_u32_e32 vcc, 0, v8
	s_mov_b64 s[20:21], -1
                                        ; implicit-def: $vgpr8_vgpr9
	s_and_saveexec_b64 s[26:27], vcc
	s_cbranch_execz .LBB4_552
; %bb.549:                              ;   in Loop: Header=BB4_49 Depth=1
	v_mad_u64_u32 v[14:15], s[20:21], v0, 24, v[6:7]
	v_mov_b32_e32 v8, v15
	v_mad_u64_u32 v[8:9], s[20:21], v1, 24, v[8:9]
	v_mov_b32_e32 v15, v8
	flat_load_dword v8, v[14:15]
	s_waitcnt vmcnt(0) lgkmcnt(0)
	v_cmp_ne_u32_e32 vcc, 1, v8
	v_cmp_eq_u32_e64 s[20:21], 1, v8
                                        ; implicit-def: $vgpr8_vgpr9
	s_and_saveexec_b64 s[60:61], s[20:21]
	s_cbranch_execz .LBB4_551
; %bb.550:                              ;   in Loop: Header=BB4_49 Depth=1
	flat_load_dword v8, v[14:15] offset:4 glc
	s_waitcnt vmcnt(0) lgkmcnt(0)
	v_ashrrev_i32_e32 v9, 31, v8
	v_lshrrev_b64 v[8:9], 1, v[8:9]
.LBB4_551:                              ;   in Loop: Header=BB4_49 Depth=1
	s_or_b64 exec, exec, s[60:61]
	s_orn2_b64 s[20:21], vcc, exec
.LBB4_552:                              ;   in Loop: Header=BB4_49 Depth=1
	s_or_b64 exec, exec, s[26:27]
	s_and_saveexec_b64 s[26:27], s[20:21]
	s_cbranch_execz .LBB4_554
; %bb.553:                              ;   in Loop: Header=BB4_49 Depth=1
	v_mul_lo_u32 v1, v1, v58
	v_mul_lo_u32 v11, v0, v27
	v_mad_u64_u32 v[8:9], s[20:21], v0, v58, 0
	v_add3_u32 v9, v9, v11, v1
.LBB4_554:                              ;   in Loop: Header=BB4_49 Depth=1
	s_or_b64 exec, exec, s[26:27]
	v_lshlrev_b64 v[0:1], 1, v[8:9]
	v_cmp_eq_u32_e32 vcc, 0, v16
	v_cndmask_b32_e32 v11, v26, v59, vcc
	v_add_co_u32_e32 v0, vcc, v34, v0
	v_addc_co_u32_e32 v1, vcc, v35, v1, vcc
	v_add_u32_e32 v8, v0, v11
	ds_write_b64 v8, v[0:1] offset:584
	v_and_b32_e32 v0, 0x2000, v60
	v_cmp_ne_u32_e32 vcc, 0, v0
	s_and_saveexec_b64 s[20:21], vcc
	s_cbranch_execz .LBB4_556
; %bb.555:                              ;   in Loop: Header=BB4_49 Depth=1
	ds_read_b64 v[0:1], v0 offset:872
	s_waitcnt lgkmcnt(0)
	v_add_co_u32_e32 v0, vcc, 1, v0
	v_addc_co_u32_e32 v1, vcc, 0, v1, vcc
	ds_write_b64 v0, v[0:1] offset:872
.LBB4_556:                              ;   in Loop: Header=BB4_49 Depth=1
	s_or_b64 exec, exec, s[20:21]
	v_mov_b32_e32 v8, v12
	v_mov_b32_e32 v9, v13
.LBB4_557:                              ;   in Loop: Header=BB4_49 Depth=1
	s_or_b64 exec, exec, s[24:25]
	s_and_saveexec_b64 s[20:21], s[10:11]
	s_cbranch_execz .LBB4_576
; %bb.558:                              ;   in Loop: Header=BB4_49 Depth=1
	s_and_saveexec_b64 s[24:25], s[46:47]
	s_xor_b64 s[24:25], exec, s[24:25]
	s_cbranch_execz .LBB4_573
; %bb.559:                              ;   in Loop: Header=BB4_49 Depth=1
	s_and_saveexec_b64 s[26:27], s[12:13]
	s_cbranch_execz .LBB4_572
; %bb.560:                              ;   in Loop: Header=BB4_49 Depth=1
	s_mov_b64 s[62:63], exec
	v_mbcnt_lo_u32_b32 v0, s62, 0
	v_mbcnt_hi_u32_b32 v0, s63, v0
	v_cmp_eq_u32_e32 vcc, 0, v0
	s_waitcnt vmcnt(0) lgkmcnt(0)
	buffer_wbinvl1_vol
	s_and_saveexec_b64 s[60:61], vcc
	s_cbranch_execz .LBB4_562
; %bb.561:                              ;   in Loop: Header=BB4_49 Depth=1
	s_bcnt1_i32_b64 s62, s[62:63]
	v_mov_b32_e32 v0, s62
	v_mov_b32_e32 v1, v52
	ds_add_u64 v0, v[0:1]
	s_trap 2
.LBB4_562:                              ;   in Loop: Header=BB4_49 Depth=1
	s_or_b64 exec, exec, s[60:61]
	s_trap 2
	ds_read_b64 v[0:1], v0
	s_waitcnt lgkmcnt(0)
	v_add_co_u32_e32 v36, vcc, v36, v62
	v_addc_co_u32_e32 v37, vcc, 0, v37, vcc
	v_cmp_lt_u64_e32 vcc, v[0:1], v[36:37]
	s_and_saveexec_b64 s[60:61], vcc
	s_cbranch_execz .LBB4_571
; %bb.563:                              ;   in Loop: Header=BB4_49 Depth=1
	s_mov_b32 s90, 0
	s_mov_b64 s[62:63], 0
                                        ; implicit-def: $sgpr72_sgpr73
                                        ; implicit-def: $sgpr74_sgpr75
	s_branch .LBB4_565
.LBB4_564:                              ;   in Loop: Header=BB4_565 Depth=2
	s_or_b64 exec, exec, s[78:79]
	s_and_b64 s[76:77], exec, s[88:89]
	s_or_b64 s[62:63], s[76:77], s[62:63]
	s_andn2_b64 s[72:73], s[72:73], exec
	s_and_b64 s[76:77], s[74:75], exec
	s_or_b64 s[72:73], s[72:73], s[76:77]
	s_andn2_b64 exec, exec, s[62:63]
	s_cbranch_execz .LBB4_569
.LBB4_565:                              ;   Parent Loop BB4_49 Depth=1
                                        ; =>  This Inner Loop Header: Depth=2
	s_add_i32 s90, s90, 1
	s_cmpk_lg_i32 s90, 0x2710
	s_cselect_b64 s[76:77], -1, 0
	s_and_b64 vcc, exec, s[76:77]
	s_cbranch_vccz .LBB4_567
; %bb.566:                              ;   in Loop: Header=BB4_565 Depth=2
	s_mov_b64 s[88:89], -1
	s_or_b64 s[74:75], s[74:75], exec
	s_and_saveexec_b64 s[78:79], s[76:77]
	s_cbranch_execz .LBB4_564
	s_branch .LBB4_568
.LBB4_567:                              ;   in Loop: Header=BB4_565 Depth=2
	s_trap 2
	ds_read_b64 v[0:1], v0
	s_andn2_b64 s[76:77], s[76:77], exec
	s_mov_b32 s90, 0
	s_waitcnt lgkmcnt(0)
	flat_load_dword v0, v[0:1] glc
	s_waitcnt vmcnt(0) lgkmcnt(0)
	buffer_wbinvl1_vol
	v_cmp_eq_u32_e32 vcc, 0, v0
	s_and_b64 s[78:79], vcc, exec
	s_or_b64 s[76:77], s[76:77], s[78:79]
	s_mov_b64 s[88:89], -1
	s_or_b64 s[74:75], s[74:75], exec
	s_and_saveexec_b64 s[78:79], s[76:77]
	s_cbranch_execz .LBB4_564
.LBB4_568:                              ;   in Loop: Header=BB4_565 Depth=2
	s_sleep 1
	s_trap 2
	ds_read_b64 v[0:1], v0
	s_waitcnt lgkmcnt(0)
	s_andn2_b64 s[74:75], s[74:75], exec
	v_cmp_ge_u64_e32 vcc, v[0:1], v[36:37]
	s_orn2_b64 s[88:89], vcc, exec
	s_branch .LBB4_564
.LBB4_569:                              ;   in Loop: Header=BB4_49 Depth=1
	s_or_b64 exec, exec, s[62:63]
	s_and_saveexec_b64 s[62:63], s[72:73]
	s_xor_b64 s[62:63], exec, s[62:63]
	s_cbranch_execz .LBB4_571
; %bb.570:                              ;   in Loop: Header=BB4_49 Depth=1
	ds_write_b32 v0, v51
	s_trap 2
.LBB4_571:                              ;   in Loop: Header=BB4_49 Depth=1
	s_or_b64 exec, exec, s[60:61]
	;;#ASMSTART
	s_wakeup
	;;#ASMEND
.LBB4_572:                              ;   in Loop: Header=BB4_49 Depth=1
	s_or_b64 exec, exec, s[26:27]
.LBB4_573:                              ;   in Loop: Header=BB4_49 Depth=1
	s_andn2_saveexec_b64 s[24:25], s[24:25]
	s_cbranch_execz .LBB4_575
; %bb.574:                              ;   in Loop: Header=BB4_49 Depth=1
	s_waitcnt vmcnt(0) lgkmcnt(0)
	buffer_wbinvl1_vol
	s_barrier
.LBB4_575:                              ;   in Loop: Header=BB4_49 Depth=1
	s_or_b64 exec, exec, s[24:25]
.LBB4_576:                              ;   in Loop: Header=BB4_49 Depth=1
	s_or_b64 exec, exec, s[20:21]
	s_trap 2
	ds_read_b32 v1, v0
	v_cmp_lt_i32_e32 vcc, 0, v10
	v_and_b32_e32 v0, 16, v60
	s_waitcnt lgkmcnt(0)
	v_readfirstlane_b32 s20, v1
	s_cmp_eq_u32 s20, 0
	s_cselect_b64 s[20:21], -1, 0
	s_and_b64 s[20:21], vcc, s[20:21]
	v_cmp_ne_u32_e32 vcc, 0, v0
	s_and_b64 s[24:25], vcc, s[20:21]
	s_and_saveexec_b64 s[20:21], s[24:25]
	s_cbranch_execz .LBB4_578
; %bb.577:                              ;   in Loop: Header=BB4_49 Depth=1
	s_waitcnt vmcnt(0)
	buffer_wbinvl1_vol
.LBB4_578:                              ;   in Loop: Header=BB4_49 Depth=1
	s_or_b64 exec, exec, s[20:21]
	v_cmp_ne_u32_e32 vcc, 0, v0
	s_xor_b64 s[20:21], s[18:19], -1
	s_and_b64 s[24:25], vcc, s[20:21]
	s_and_saveexec_b64 s[20:21], s[24:25]
	s_cbranch_execz .LBB4_580
; %bb.579:                              ;   in Loop: Header=BB4_49 Depth=1
	buffer_load_dword v0, off, s[0:3], s33 offset:60 ; 4-byte Folded Reload
	buffer_load_dword v1, off, s[0:3], s33 offset:64 ; 4-byte Folded Reload
	s_waitcnt vmcnt(0)
	flat_store_dword v[0:1], v51
.LBB4_580:                              ;   in Loop: Header=BB4_49 Depth=1
	s_or_b64 exec, exec, s[20:21]
	v_and_b32_e32 v0, 48, v60
	v_cmp_ne_u32_e32 vcc, 0, v0
	s_and_saveexec_b64 s[20:21], vcc
	s_cbranch_execz .LBB4_47
; %bb.581:                              ;   in Loop: Header=BB4_49 Depth=1
	v_add_co_u32_e32 v8, vcc, 1, v8
	v_addc_co_u32_e32 v9, vcc, 0, v9, vcc
	flat_store_dwordx2 v[32:33], v[8:9]
	s_branch .LBB4_47
.LBB4_582:
	s_or_b64 exec, exec, s[56:57]
	buffer_load_dword v59, off, s[0:3], s33 offset:92 ; 4-byte Folded Reload
	buffer_load_dword v31, off, s[0:3], s33 offset:96 ; 4-byte Folded Reload
	;; [unrolled: 1-line block ×5, first 2 shown]
.LBB4_583:
	s_or_b64 exec, exec, s[44:45]
                                        ; implicit-def: $vgpr45_vgpr46
                                        ; implicit-def: $vgpr4_vgpr5
                                        ; implicit-def: $vgpr58
                                        ; implicit-def: $vgpr38_vgpr39
                                        ; implicit-def: $vgpr34_vgpr35
                                        ; implicit-def: $vgpr32_vgpr33
                                        ; implicit-def: $vgpr56
                                        ; implicit-def: $vgpr24
                                        ; implicit-def: $vgpr48
.LBB4_584:
	s_andn2_saveexec_b64 s[26:27], s[42:43]
	s_cbranch_execz .LBB4_1112
; %bb.585:
	v_mov_b32_e32 v36, 0
	v_cmp_ne_u64_e32 vcc, 0, v[4:5]
	v_mov_b32_e32 v37, 0
	s_and_saveexec_b64 s[42:43], vcc
	s_cbranch_execz .LBB4_1111
; %bb.586:
	s_waitcnt vmcnt(0)
	v_and_b32_e32 v0, 63, v31
	v_lshrrev_b32_e32 v51, 6, v56
	v_cmp_eq_u32_e64 s[12:13], 0, v0
	v_and_b32_e32 v1, 63, v56
	v_lshlrev_b32_e32 v0, 11, v51
	s_lshr_b32 s6, s30, 27
	v_lshl_or_b32 v0, v1, 4, v0
	buffer_store_dword v58, off, s[0:3], s33 offset:76 ; 4-byte Folded Spill
	buffer_store_dword v26, off, s[0:3], s33 offset:84 ; 4-byte Folded Spill
	s_nop 0
	buffer_store_dword v27, off, s[0:3], s33 offset:88 ; 4-byte Folded Spill
	s_add_i32 s6, s30, s6
	s_trap 2
	v_cmp_eq_u32_e32 vcc, 64, v59
	v_lshrrev_b32_e32 v2, 6, v59
	buffer_store_dword v0, off, s[0:3], s33 offset:120 ; 4-byte Folded Spill
	v_lshlrev_b32_e32 v0, 1, v59
	v_mov_b32_e32 v52, 0
	v_mov_b32_e32 v36, 0
	s_ashr_i32 s94, s6, 5
	v_cmp_ge_u32_e64 s[6:7], v56, v59
	v_cmp_ne_u32_e64 s[10:11], 64, v59
	buffer_store_dword v62, off, s[0:3], s33 offset:100 ; 4-byte Folded Spill
	v_cmp_ne_u32_sdwa s[44:45], v59, v62 src0_sel:DWORD src1_sel:WORD_0
	v_mov_b32_e32 v20, 0
	v_cmp_le_u32_e64 s[14:15], v1, v24
	v_cmp_eq_u32_e64 s[16:17], 0, v1
	v_lshlrev_b32_e32 v57, 11, v2
	v_lshlrev_b32_e32 v58, 10, v2
	buffer_store_dword v59, off, s[0:3], s33 offset:92 ; 4-byte Folded Spill
	v_and_b32_e32 v59, 0x7f80, v0
	s_mov_b64 s[46:47], 0
	v_mov_b32_e32 v53, 0
	v_mov_b32_e32 v37, 0
	s_xor_b64 s[56:57], vcc, -1
	s_movk_i32 s95, 0x7c00
	s_movk_i32 s31, 0x7c01
	s_mov_b32 s34, 0x7060302
	s_mov_b32 s35, 0x5040100
	v_mov_b32_e32 v62, 0x7fff
	buffer_store_dword v31, off, s[0:3], s33 offset:96 ; 4-byte Folded Spill
	buffer_store_dword v1, off, s[0:3], s33 offset:116 ; 4-byte Folded Spill
	;; [unrolled: 1-line block ×4, first 2 shown]
	s_nop 0
	buffer_store_dword v46, off, s[0:3], s33 offset:72 ; 4-byte Folded Spill
	buffer_store_dword v51, off, s[0:3], s33 offset:112 ; 4-byte Folded Spill
	s_branch .LBB4_589
.LBB4_587:                              ;   in Loop: Header=BB4_589 Depth=1
	s_or_b64 exec, exec, s[18:19]
.LBB4_588:                              ;   in Loop: Header=BB4_589 Depth=1
	s_or_b64 exec, exec, s[20:21]
	v_add_co_u32_e32 v52, vcc, v52, v48
	v_addc_co_u32_e32 v53, vcc, 0, v53, vcc
	v_cmp_ge_u64_e32 vcc, v[52:53], v[4:5]
	s_or_b64 s[46:47], vcc, s[46:47]
	s_andn2_b64 exec, exec, s[46:47]
	s_cbranch_execz .LBB4_1110
.LBB4_589:                              ; =>This Loop Header: Depth=1
                                        ;     Child Loop BB4_598 Depth 2
                                        ;     Child Loop BB4_622 Depth 2
	;; [unrolled: 1-line block ×10, first 2 shown]
	v_sub_co_u32_e32 v0, vcc, v4, v52
	v_subb_co_u32_e32 v1, vcc, v5, v53, vcc
	v_cmp_lt_u64_e32 vcc, v[48:49], v[0:1]
	v_mov_b32_e32 v3, 0
	v_cndmask_b32_e64 v55, v1, 0, vcc
	v_cndmask_b32_e32 v54, v0, v48, vcc
	v_cmp_eq_u64_e32 vcc, 0, v[54:55]
	v_add_u32_e32 v0, 15, v54
	v_and_b32_e32 v0, 0x3ffffff0, v0
	s_or_b64 s[58:59], s[6:7], vcc
	v_max_i32_e32 v30, s94, v0
	s_xor_b64 s[18:19], s[58:59], -1
	s_and_saveexec_b64 s[60:61], s[18:19]
	s_cbranch_execz .LBB4_1064
; %bb.590:                              ;   in Loop: Header=BB4_589 Depth=1
	s_and_saveexec_b64 s[18:19], s[4:5]
	s_cbranch_execz .LBB4_592
; %bb.591:                              ;   in Loop: Header=BB4_589 Depth=1
	s_trap 2
	ds_read2_b64 v[10:13], v0 offset1:1
	s_waitcnt vmcnt(0)
	v_add_co_u32_e32 v0, vcc, v52, v45
	v_addc_co_u32_e32 v1, vcc, v53, v46, vcc
	v_lshlrev_b64 v[0:1], 1, v[0:1]
	ds_read_b64 v[14:15], v0
	s_waitcnt lgkmcnt(0)
	v_add_co_u32_e32 v10, vcc, v10, v0
	v_addc_co_u32_e32 v11, vcc, v11, v1, vcc
	ds_write_b64 v0, v[10:11]
	v_add_co_u32_e32 v10, vcc, v12, v0
	v_addc_co_u32_e32 v11, vcc, v13, v1, vcc
	ds_write_b64 v0, v[10:11]
	v_add_co_u32_e32 v0, vcc, v14, v0
	v_addc_co_u32_e32 v1, vcc, v15, v1, vcc
	v_cmp_ne_u64_e32 vcc, 0, v[14:15]
	v_cndmask_b32_e32 v1, 0, v1, vcc
	v_cndmask_b32_e32 v0, 0, v0, vcc
	ds_write_b64 v0, v[0:1]
.LBB4_592:                              ;   in Loop: Header=BB4_589 Depth=1
	s_or_b64 exec, exec, s[18:19]
	v_and_b32_e32 v0, 4, v60
	v_cmp_ne_u32_e32 vcc, 0, v0
	s_and_saveexec_b64 s[20:21], vcc
	s_cbranch_execz .LBB4_614
; %bb.593:                              ;   in Loop: Header=BB4_589 Depth=1
	s_waitcnt lgkmcnt(0)
	v_add_co_u32_e32 v10, vcc, 1, v8
	v_addc_co_u32_e32 v11, vcc, 0, v9, vcc
	s_waitcnt vmcnt(0)
	v_cmp_lt_u64_e32 vcc, v[38:39], v[10:11]
	s_and_saveexec_b64 s[22:23], vcc
	s_cbranch_execz .LBB4_605
; %bb.594:                              ;   in Loop: Header=BB4_589 Depth=1
	v_and_b32_e32 v0, 64, v60
	s_mov_b32 s36, 0
	v_cmp_eq_u32_e32 vcc, 0, v0
	s_mov_b64 s[24:25], 0
                                        ; implicit-def: $sgpr62_sgpr63
                                        ; implicit-def: $sgpr72_sgpr73
                                        ; implicit-def: $sgpr74_sgpr75
	s_branch .LBB4_598
.LBB4_595:                              ;   in Loop: Header=BB4_598 Depth=2
	s_waitcnt vmcnt(0) lgkmcnt(0)
	v_cmp_ge_u64_e64 s[18:19], v[38:39], v[10:11]
	s_or_b64 s[88:89], s[88:89], exec
	s_orn2_b64 s[78:79], s[18:19], exec
.LBB4_596:                              ;   in Loop: Header=BB4_598 Depth=2
	s_or_b64 exec, exec, s[92:93]
	s_andn2_b64 s[18:19], s[74:75], exec
	s_and_b64 s[74:75], s[88:89], exec
	s_or_b64 s[74:75], s[18:19], s[74:75]
	s_andn2_b64 s[18:19], s[72:73], exec
	s_and_b64 s[72:73], s[78:79], exec
	s_or_b64 s[72:73], s[18:19], s[72:73]
.LBB4_597:                              ;   in Loop: Header=BB4_598 Depth=2
	s_or_b64 exec, exec, s[76:77]
	s_and_b64 s[18:19], exec, s[72:73]
	s_or_b64 s[24:25], s[18:19], s[24:25]
	s_andn2_b64 s[18:19], s[62:63], exec
	s_and_b64 s[62:63], s[74:75], exec
	s_or_b64 s[62:63], s[18:19], s[62:63]
	s_andn2_b64 exec, exec, s[24:25]
	s_cbranch_execz .LBB4_602
.LBB4_598:                              ;   Parent Loop BB4_589 Depth=1
                                        ; =>  This Inner Loop Header: Depth=2
	s_sleep 1
	s_waitcnt vmcnt(0) lgkmcnt(0)
	flat_load_dwordx2 v[38:39], v[32:33] glc
	s_or_b64 s[74:75], s[74:75], exec
	s_or_b64 s[72:73], s[72:73], exec
                                        ; implicit-def: $vgpr0
	s_and_saveexec_b64 s[76:77], vcc
	s_cbranch_execz .LBB4_597
; %bb.599:                              ;   in Loop: Header=BB4_598 Depth=2
	s_cmpk_lt_i32 s36, 0x270f
	s_cselect_b64 s[90:91], -1, 0
	s_cmpk_gt_i32 s36, 0x270e
	s_mov_b64 s[78:79], -1
	s_cbranch_scc0 .LBB4_601
; %bb.600:                              ;   in Loop: Header=BB4_598 Depth=2
	s_trap 2
	ds_read_b64 v[0:1], v0
	s_andn2_b64 s[90:91], s[90:91], exec
	s_mov_b32 s36, 0
	s_mov_b64 s[88:89], 0
	s_waitcnt vmcnt(0) lgkmcnt(0)
	flat_load_dword v0, v[0:1] glc
	s_waitcnt vmcnt(0) lgkmcnt(0)
	buffer_wbinvl1_vol
	v_cmp_eq_u32_e64 s[18:19], 0, v0
	s_and_b64 s[18:19], s[18:19], exec
	s_or_b64 s[90:91], s[90:91], s[18:19]
	s_and_saveexec_b64 s[92:93], s[90:91]
	s_cbranch_execz .LBB4_596
	s_branch .LBB4_595
.LBB4_601:                              ;   in Loop: Header=BB4_598 Depth=2
	s_add_i32 s36, s36, 1
	s_mov_b64 s[88:89], -1
                                        ; implicit-def: $vgpr0
	s_and_saveexec_b64 s[92:93], s[90:91]
	s_cbranch_execz .LBB4_596
	s_branch .LBB4_595
.LBB4_602:                              ;   in Loop: Header=BB4_589 Depth=1
	s_or_b64 exec, exec, s[24:25]
	s_xor_b64 s[18:19], s[62:63], -1
	s_and_saveexec_b64 s[24:25], s[18:19]
	s_xor_b64 s[18:19], exec, s[24:25]
	s_cbranch_execz .LBB4_604
; %bb.603:                              ;   in Loop: Header=BB4_589 Depth=1
	v_or_b32_e32 v60, 64, v60
	s_waitcnt lgkmcnt(0)
	ds_write_b32 v0, v0
	s_trap 2
.LBB4_604:                              ;   in Loop: Header=BB4_589 Depth=1
	s_or_b64 exec, exec, s[18:19]
.LBB4_605:                              ;   in Loop: Header=BB4_589 Depth=1
	s_or_b64 exec, exec, s[22:23]
	v_and_b32_e32 v0, 0x100, v60
	v_cmp_ne_u32_e32 vcc, 0, v0
	v_and_b32_e32 v0, 7, v8
	s_mov_b64 s[18:19], -1
	;;#ASMSTART
	s_wakeup
	;;#ASMEND
                                        ; implicit-def: $vgpr8_vgpr9
	s_and_saveexec_b64 s[22:23], vcc
	s_cbranch_execz .LBB4_609
; %bb.606:                              ;   in Loop: Header=BB4_589 Depth=1
	v_mad_u64_u32 v[12:13], s[18:19], v0, 24, v[6:7]
                                        ; implicit-def: $vgpr8_vgpr9
	flat_load_dword v1, v[12:13]
	s_waitcnt vmcnt(0) lgkmcnt(0)
	v_cmp_ne_u32_e32 vcc, 1, v1
	v_cmp_eq_u32_e64 s[18:19], 1, v1
	s_and_saveexec_b64 s[24:25], s[18:19]
	s_cbranch_execz .LBB4_608
; %bb.607:                              ;   in Loop: Header=BB4_589 Depth=1
	flat_load_dword v8, v[12:13] offset:4 glc
	s_waitcnt vmcnt(0) lgkmcnt(0)
	v_ashrrev_i32_e32 v9, 31, v8
	v_lshrrev_b64 v[8:9], 1, v[8:9]
.LBB4_608:                              ;   in Loop: Header=BB4_589 Depth=1
	s_or_b64 exec, exec, s[24:25]
	s_orn2_b64 s[18:19], vcc, exec
.LBB4_609:                              ;   in Loop: Header=BB4_589 Depth=1
	s_or_b64 exec, exec, s[22:23]
	s_and_saveexec_b64 s[22:23], s[18:19]
	s_cbranch_execz .LBB4_611
; %bb.610:                              ;   in Loop: Header=BB4_589 Depth=1
	buffer_load_dword v1, off, s[0:3], s33 offset:76 ; 4-byte Folded Reload
	s_waitcnt vmcnt(0)
	v_mad_i64_i32 v[8:9], s[18:19], v0, v1, 0
.LBB4_611:                              ;   in Loop: Header=BB4_589 Depth=1
	s_or_b64 exec, exec, s[22:23]
	v_lshlrev_b64 v[0:1], 1, v[8:9]
	v_add_co_u32_e32 v0, vcc, v34, v0
	v_addc_co_u32_e32 v1, vcc, v35, v1, vcc
	ds_write_b64 v0, v[0:1] offset:728
	v_and_b32_e32 v0, 0x2000, v60
	v_cmp_ne_u32_e32 vcc, 0, v0
	s_and_saveexec_b64 s[18:19], vcc
	s_cbranch_execz .LBB4_613
; %bb.612:                              ;   in Loop: Header=BB4_589 Depth=1
	ds_read_b64 v[0:1], v0 offset:872
	s_waitcnt lgkmcnt(0)
	v_add_co_u32_e32 v0, vcc, 1, v0
	v_addc_co_u32_e32 v1, vcc, 0, v1, vcc
	ds_write_b64 v0, v[0:1] offset:872
.LBB4_613:                              ;   in Loop: Header=BB4_589 Depth=1
	s_or_b64 exec, exec, s[18:19]
	v_mov_b32_e32 v8, v10
	v_mov_b32_e32 v9, v11
.LBB4_614:                              ;   in Loop: Header=BB4_589 Depth=1
	s_or_b64 exec, exec, s[20:21]
	s_and_saveexec_b64 s[18:19], s[10:11]
	s_cbranch_execz .LBB4_633
; %bb.615:                              ;   in Loop: Header=BB4_589 Depth=1
	s_and_saveexec_b64 s[20:21], s[44:45]
	s_xor_b64 s[20:21], exec, s[20:21]
	s_cbranch_execz .LBB4_630
; %bb.616:                              ;   in Loop: Header=BB4_589 Depth=1
	s_and_saveexec_b64 s[22:23], s[12:13]
	s_cbranch_execz .LBB4_629
; %bb.617:                              ;   in Loop: Header=BB4_589 Depth=1
	s_mov_b64 s[62:63], exec
	v_mbcnt_lo_u32_b32 v0, s62, 0
	v_mbcnt_hi_u32_b32 v0, s63, v0
	v_cmp_eq_u32_e32 vcc, 0, v0
	s_waitcnt vmcnt(0) lgkmcnt(0)
	buffer_wbinvl1_vol
	s_and_saveexec_b64 s[24:25], vcc
	s_cbranch_execz .LBB4_619
; %bb.618:                              ;   in Loop: Header=BB4_589 Depth=1
	s_bcnt1_i32_b64 s62, s[62:63]
	v_mov_b32_e32 v19, s62
	ds_add_u64 v0, v[19:20]
	s_trap 2
.LBB4_619:                              ;   in Loop: Header=BB4_589 Depth=1
	s_or_b64 exec, exec, s[24:25]
	s_trap 2
	ds_read_b64 v[0:1], v0
	s_waitcnt lgkmcnt(0)
	v_add_co_u32_e32 v36, vcc, v36, v2
	v_addc_co_u32_e32 v37, vcc, 0, v37, vcc
	v_cmp_lt_u64_e32 vcc, v[0:1], v[36:37]
	s_and_saveexec_b64 s[24:25], vcc
	s_cbranch_execz .LBB4_628
; %bb.620:                              ;   in Loop: Header=BB4_589 Depth=1
	s_mov_b32 s90, 0
	s_mov_b64 s[62:63], 0
                                        ; implicit-def: $sgpr72_sgpr73
                                        ; implicit-def: $sgpr74_sgpr75
	s_branch .LBB4_622
.LBB4_621:                              ;   in Loop: Header=BB4_622 Depth=2
	s_or_b64 exec, exec, s[78:79]
	s_and_b64 s[76:77], exec, s[88:89]
	s_or_b64 s[62:63], s[76:77], s[62:63]
	s_andn2_b64 s[72:73], s[72:73], exec
	s_and_b64 s[76:77], s[74:75], exec
	s_or_b64 s[72:73], s[72:73], s[76:77]
	s_andn2_b64 exec, exec, s[62:63]
	s_cbranch_execz .LBB4_626
.LBB4_622:                              ;   Parent Loop BB4_589 Depth=1
                                        ; =>  This Inner Loop Header: Depth=2
	s_add_i32 s90, s90, 1
	s_cmpk_lg_i32 s90, 0x2710
	s_cselect_b64 s[76:77], -1, 0
	s_and_b64 vcc, exec, s[76:77]
	s_cbranch_vccz .LBB4_624
; %bb.623:                              ;   in Loop: Header=BB4_622 Depth=2
	s_mov_b64 s[88:89], -1
	s_or_b64 s[74:75], s[74:75], exec
	s_and_saveexec_b64 s[78:79], s[76:77]
	s_cbranch_execz .LBB4_621
	s_branch .LBB4_625
.LBB4_624:                              ;   in Loop: Header=BB4_622 Depth=2
	s_trap 2
	ds_read_b64 v[0:1], v0
	s_andn2_b64 s[76:77], s[76:77], exec
	s_mov_b32 s90, 0
	s_waitcnt lgkmcnt(0)
	flat_load_dword v0, v[0:1] glc
	s_waitcnt vmcnt(0) lgkmcnt(0)
	buffer_wbinvl1_vol
	v_cmp_eq_u32_e32 vcc, 0, v0
	s_and_b64 s[78:79], vcc, exec
	s_or_b64 s[76:77], s[76:77], s[78:79]
	s_mov_b64 s[88:89], -1
	s_or_b64 s[74:75], s[74:75], exec
	s_and_saveexec_b64 s[78:79], s[76:77]
	s_cbranch_execz .LBB4_621
.LBB4_625:                              ;   in Loop: Header=BB4_622 Depth=2
	s_sleep 1
	s_trap 2
	ds_read_b64 v[0:1], v0
	s_waitcnt lgkmcnt(0)
	s_andn2_b64 s[74:75], s[74:75], exec
	v_cmp_ge_u64_e32 vcc, v[0:1], v[36:37]
	s_orn2_b64 s[88:89], vcc, exec
	s_branch .LBB4_621
.LBB4_626:                              ;   in Loop: Header=BB4_589 Depth=1
	s_or_b64 exec, exec, s[62:63]
	s_and_saveexec_b64 s[62:63], s[72:73]
	s_xor_b64 s[62:63], exec, s[62:63]
	s_cbranch_execz .LBB4_628
; %bb.627:                              ;   in Loop: Header=BB4_589 Depth=1
	v_mov_b32_e32 v0, 1
	ds_write_b32 v0, v0
	s_trap 2
.LBB4_628:                              ;   in Loop: Header=BB4_589 Depth=1
	s_or_b64 exec, exec, s[24:25]
	;;#ASMSTART
	s_wakeup
	;;#ASMEND
.LBB4_629:                              ;   in Loop: Header=BB4_589 Depth=1
	s_or_b64 exec, exec, s[22:23]
.LBB4_630:                              ;   in Loop: Header=BB4_589 Depth=1
	s_andn2_saveexec_b64 s[20:21], s[20:21]
	s_cbranch_execz .LBB4_632
; %bb.631:                              ;   in Loop: Header=BB4_589 Depth=1
	s_waitcnt vmcnt(0) lgkmcnt(0)
	buffer_wbinvl1_vol
	s_barrier
.LBB4_632:                              ;   in Loop: Header=BB4_589 Depth=1
	s_or_b64 exec, exec, s[20:21]
.LBB4_633:                              ;   in Loop: Header=BB4_589 Depth=1
	s_or_b64 exec, exec, s[18:19]
	s_trap 2
	ds_read_b32 v3, v0
	v_and_b32_e32 v0, 0x4000, v60
	v_cmp_ne_u32_e32 vcc, 0, v0
	s_and_b64 s[20:21], s[56:57], vcc
	s_and_saveexec_b64 s[18:19], s[20:21]
	s_cbranch_execz .LBB4_652
; %bb.634:                              ;   in Loop: Header=BB4_589 Depth=1
	s_and_saveexec_b64 s[20:21], s[44:45]
	s_xor_b64 s[20:21], exec, s[20:21]
	s_cbranch_execz .LBB4_649
; %bb.635:                              ;   in Loop: Header=BB4_589 Depth=1
	s_and_saveexec_b64 s[22:23], s[12:13]
	s_cbranch_execz .LBB4_648
; %bb.636:                              ;   in Loop: Header=BB4_589 Depth=1
	s_mov_b64 s[62:63], exec
	v_mbcnt_lo_u32_b32 v0, s62, 0
	v_mbcnt_hi_u32_b32 v0, s63, v0
	v_cmp_eq_u32_e32 vcc, 0, v0
	s_waitcnt vmcnt(0) lgkmcnt(0)
	buffer_wbinvl1_vol
	s_and_saveexec_b64 s[24:25], vcc
	s_cbranch_execz .LBB4_638
; %bb.637:                              ;   in Loop: Header=BB4_589 Depth=1
	s_bcnt1_i32_b64 s62, s[62:63]
	v_mov_b32_e32 v19, s62
	ds_add_u64 v0, v[19:20]
	s_trap 2
.LBB4_638:                              ;   in Loop: Header=BB4_589 Depth=1
	s_or_b64 exec, exec, s[24:25]
	s_trap 2
	ds_read_b64 v[0:1], v0
	s_waitcnt lgkmcnt(0)
	v_add_co_u32_e32 v36, vcc, v36, v2
	v_addc_co_u32_e32 v37, vcc, 0, v37, vcc
	v_cmp_lt_u64_e32 vcc, v[0:1], v[36:37]
	s_and_saveexec_b64 s[24:25], vcc
	s_cbranch_execz .LBB4_647
; %bb.639:                              ;   in Loop: Header=BB4_589 Depth=1
	s_mov_b32 s90, 0
	s_mov_b64 s[62:63], 0
                                        ; implicit-def: $sgpr72_sgpr73
                                        ; implicit-def: $sgpr74_sgpr75
	s_branch .LBB4_641
.LBB4_640:                              ;   in Loop: Header=BB4_641 Depth=2
	s_or_b64 exec, exec, s[78:79]
	s_and_b64 s[76:77], exec, s[88:89]
	s_or_b64 s[62:63], s[76:77], s[62:63]
	s_andn2_b64 s[72:73], s[72:73], exec
	s_and_b64 s[76:77], s[74:75], exec
	s_or_b64 s[72:73], s[72:73], s[76:77]
	s_andn2_b64 exec, exec, s[62:63]
	s_cbranch_execz .LBB4_645
.LBB4_641:                              ;   Parent Loop BB4_589 Depth=1
                                        ; =>  This Inner Loop Header: Depth=2
	s_add_i32 s90, s90, 1
	s_cmpk_lg_i32 s90, 0x2710
	s_cselect_b64 s[76:77], -1, 0
	s_and_b64 vcc, exec, s[76:77]
	s_cbranch_vccz .LBB4_643
; %bb.642:                              ;   in Loop: Header=BB4_641 Depth=2
	s_mov_b64 s[88:89], -1
	s_or_b64 s[74:75], s[74:75], exec
	s_and_saveexec_b64 s[78:79], s[76:77]
	s_cbranch_execz .LBB4_640
	s_branch .LBB4_644
.LBB4_643:                              ;   in Loop: Header=BB4_641 Depth=2
	s_trap 2
	ds_read_b64 v[0:1], v0
	s_andn2_b64 s[76:77], s[76:77], exec
	s_mov_b32 s90, 0
	s_waitcnt lgkmcnt(0)
	flat_load_dword v0, v[0:1] glc
	s_waitcnt vmcnt(0) lgkmcnt(0)
	buffer_wbinvl1_vol
	v_cmp_eq_u32_e32 vcc, 0, v0
	s_and_b64 s[78:79], vcc, exec
	s_or_b64 s[76:77], s[76:77], s[78:79]
	s_mov_b64 s[88:89], -1
	s_or_b64 s[74:75], s[74:75], exec
	s_and_saveexec_b64 s[78:79], s[76:77]
	s_cbranch_execz .LBB4_640
.LBB4_644:                              ;   in Loop: Header=BB4_641 Depth=2
	s_sleep 1
	s_trap 2
	ds_read_b64 v[0:1], v0
	s_waitcnt lgkmcnt(0)
	s_andn2_b64 s[74:75], s[74:75], exec
	v_cmp_ge_u64_e32 vcc, v[0:1], v[36:37]
	s_orn2_b64 s[88:89], vcc, exec
	s_branch .LBB4_640
.LBB4_645:                              ;   in Loop: Header=BB4_589 Depth=1
	s_or_b64 exec, exec, s[62:63]
	s_and_saveexec_b64 s[62:63], s[72:73]
	s_xor_b64 s[62:63], exec, s[62:63]
	s_cbranch_execz .LBB4_647
; %bb.646:                              ;   in Loop: Header=BB4_589 Depth=1
	v_mov_b32_e32 v0, 1
	ds_write_b32 v0, v0
	s_trap 2
.LBB4_647:                              ;   in Loop: Header=BB4_589 Depth=1
	s_or_b64 exec, exec, s[24:25]
	;;#ASMSTART
	s_wakeup
	;;#ASMEND
.LBB4_648:                              ;   in Loop: Header=BB4_589 Depth=1
	s_or_b64 exec, exec, s[22:23]
.LBB4_649:                              ;   in Loop: Header=BB4_589 Depth=1
	s_andn2_saveexec_b64 s[20:21], s[20:21]
	s_cbranch_execz .LBB4_651
; %bb.650:                              ;   in Loop: Header=BB4_589 Depth=1
	s_waitcnt vmcnt(0) lgkmcnt(0)
	buffer_wbinvl1_vol
	s_barrier
.LBB4_651:                              ;   in Loop: Header=BB4_589 Depth=1
	s_or_b64 exec, exec, s[20:21]
.LBB4_652:                              ;   in Loop: Header=BB4_589 Depth=1
	s_or_b64 exec, exec, s[18:19]
	s_trap 2
	ds_read_b64 v[40:41], v0
	v_min_u32_e32 v30, v30, v54
	s_waitcnt lgkmcnt(0)
	v_cmp_eq_u64_e32 vcc, 0, v[40:41]
	s_cbranch_vccnz .LBB4_660
; %bb.653:                              ;   in Loop: Header=BB4_589 Depth=1
	s_trap 2
	ds_read_b64 v[42:43], v0
	s_waitcnt lgkmcnt(0)
	v_cmp_eq_u64_e32 vcc, 0, v[42:43]
	s_cbranch_vccnz .LBB4_660
; %bb.654:                              ;   in Loop: Header=BB4_589 Depth=1
	s_trap 2
	ds_read_b64 v[0:1], v0
	s_mov_b64 s[20:21], -1
	s_waitcnt lgkmcnt(0)
	v_readfirstlane_b32 s92, v0
	s_and_saveexec_b64 s[18:19], s[14:15]
	s_cbranch_execz .LBB4_656
; %bb.655:                              ;   in Loop: Header=BB4_589 Depth=1
	ds_read_b32 v0, v0 offset:720
	s_waitcnt lgkmcnt(0)
	v_and_b32_e32 v0, 15, v0
	v_cmp_eq_u32_e32 vcc, 0, v0
	s_orn2_b64 s[20:21], vcc, exec
.LBB4_656:                              ;   in Loop: Header=BB4_589 Depth=1
	s_or_b64 exec, exec, s[18:19]
	s_and_saveexec_b64 s[18:19], s[16:17]
	s_cbranch_execz .LBB4_658
; %bb.657:                              ;   in Loop: Header=BB4_589 Depth=1
	ds_read_b32 v0, v0 offset:784
	s_waitcnt lgkmcnt(0)
	v_and_b32_e32 v0, 15, v0
	v_cmp_eq_u32_e32 vcc, 0, v0
	s_and_b64 s[22:23], s[20:21], vcc
	s_andn2_b64 s[20:21], s[20:21], exec
	s_and_b64 s[22:23], s[22:23], exec
	s_or_b64 s[20:21], s[20:21], s[22:23]
.LBB4_658:                              ;   in Loop: Header=BB4_589 Depth=1
	s_or_b64 exec, exec, s[18:19]
	v_cmp_eq_u32_e32 vcc, 0, v3
	s_xor_b64 s[20:21], s[20:21], -1
	v_cndmask_b32_e32 v50, 0, v30, vcc
	v_cndmask_b32_e64 v0, 0, 1, s[20:21]
	v_lshlrev_b32_e32 v28, 1, v50
	s_mov_b64 s[18:19], -1
	v_cmp_ne_u32_e32 vcc, 0, v0
	v_mov_b32_e32 v3, 0
	s_cbranch_vccz .LBB4_661
; %bb.659:                              ;   in Loop: Header=BB4_589 Depth=1
	s_waitcnt vmcnt(0)
	v_mov_b32_e32 v16, v56
	s_and_saveexec_b64 s[62:63], s[18:19]
	s_cbranch_execnz .LBB4_928
	s_branch .LBB4_1040
.LBB4_660:                              ;   in Loop: Header=BB4_589 Depth=1
	s_mov_b64 s[18:19], 0
	s_and_saveexec_b64 s[20:21], s[10:11]
	s_cbranch_execnz .LBB4_1041
	s_branch .LBB4_1059
.LBB4_661:                              ;   in Loop: Header=BB4_589 Depth=1
	v_lshrrev_b32_e32 v3, 10, v50
	v_sub_u32_e32 v29, v3, v51
	v_cmp_lt_i32_e32 vcc, 0, v29
	s_and_saveexec_b64 s[62:63], vcc
	s_cbranch_execz .LBB4_857
; %bb.662:                              ;   in Loop: Header=BB4_589 Depth=1
	s_trap 2
	buffer_load_dword v10, off, s[0:3], s33 offset:120 ; 4-byte Folded Reload
	ds_read_b64 v[0:1], v0
	s_bitcmp1_b32 s92, 0
	v_mov_b32_e32 v27, v20
	s_mov_b64 s[72:73], 0
	s_cselect_b64 s[74:75], -1, 0
	s_waitcnt vmcnt(0)
	v_add_co_u32_e32 v44, vcc, v40, v10
	v_addc_co_u32_e32 v45, vcc, 0, v41, vcc
	s_waitcnt lgkmcnt(0)
	v_add_co_u32_e32 v46, vcc, v0, v10
	v_addc_co_u32_e32 v47, vcc, 0, v1, vcc
	v_add_co_u32_e32 v55, vcc, v42, v10
	v_addc_co_u32_e32 v56, vcc, 0, v43, vcc
	s_branch .LBB4_666
.LBB4_663:                              ;   in Loop: Header=BB4_666 Depth=2
	s_or_b64 exec, exec, s[22:23]
	v_mov_b32_e32 v26, v0
.LBB4_664:                              ;   in Loop: Header=BB4_666 Depth=2
	s_or_b64 exec, exec, s[76:77]
	v_mov_b32_e32 v17, v26
.LBB4_665:                              ;   in Loop: Header=BB4_666 Depth=2
	v_lshlrev_b32_e32 v0, 16, v19
	v_and_b32_e32 v1, 0xffff, v22
	v_lshlrev_b32_e32 v13, 16, v18
	v_and_b32_e32 v18, 0xffff, v31
	v_or_b32_e32 v13, v13, v18
	v_or3_b32 v19, v0, v1, 0
	v_lshlrev_b32_e32 v0, 16, v20
	v_and_b32_e32 v1, 0xffff, v23
	v_add_co_u32_e32 v44, vcc, v44, v57
	v_or3_b32 v18, 0, 0, v13
	v_or_b32_e32 v0, v0, v1
	v_lshlrev_b32_e32 v1, 16, v21
	v_and_b32_e32 v13, 0xffff, v24
	v_addc_co_u32_e32 v45, vcc, 0, v45, vcc
	v_or3_b32 v21, v1, v13, 0
	v_or3_b32 v20, 0, 0, v0
	v_lshlrev_b32_e32 v0, 16, v11
	v_and_b32_e32 v1, 0xffff, v14
	v_lshlrev_b32_e32 v10, 16, v10
	v_and_b32_e32 v11, 0xffff, v25
	v_add_co_u32_e32 v46, vcc, v46, v57
	v_or_b32_e32 v10, v10, v11
	v_or3_b32 v11, v0, v1, 0
	v_lshlrev_b32_e32 v0, 16, v12
	v_and_b32_e32 v1, 0xffff, v15
	v_addc_co_u32_e32 v47, vcc, 0, v47, vcc
	v_sub_u32_e32 v29, v29, v2
	v_or_b32_e32 v0, v0, v1
	v_lshlrev_b32_e32 v1, 16, v17
	v_and_b32_e32 v12, 0xffff, v16
	v_cmp_gt_i32_e32 vcc, 1, v29
	v_or3_b32 v10, 0, 0, v10
	v_or3_b32 v13, v1, v12, 0
	;; [unrolled: 1-line block ×3, first 2 shown]
	global_store_dwordx4 v[55:56], v[18:21], off glc slc
	global_store_dwordx4 v[55:56], v[10:13], off offset:1024 glc slc
	s_or_b64 s[72:73], vcc, s[72:73]
	v_add_co_u32_e32 v55, vcc, v55, v57
	v_addc_co_u32_e32 v56, vcc, 0, v56, vcc
	s_andn2_b64 exec, exec, s[72:73]
	s_cbranch_execz .LBB4_856
.LBB4_666:                              ;   Parent Loop BB4_589 Depth=1
                                        ; =>  This Inner Loop Header: Depth=2
	global_load_dwordx4 v[18:21], v[44:45], off glc slc
	global_load_dwordx4 v[10:13], v[44:45], off offset:1024 glc slc
	global_load_dwordx4 v[22:25], v[46:47], off glc slc
	global_load_dwordx4 v[14:17], v[46:47], off offset:1024 glc slc
	s_mov_b64 s[22:23], -1
	s_and_b64 vcc, exec, s[74:75]
                                        ; implicit-def: $vgpr31
	s_waitcnt vmcnt(3)
	v_and_b32_e32 v0, 0x7fff, v18
	v_cmp_lt_u16_e64 s[18:19], s95, v0
	s_waitcnt vmcnt(1)
	v_and_b32_e32 v26, 0x7fff, v22
	v_cmp_gt_u16_e64 s[20:21], s31, v26
	s_and_b64 s[24:25], s[18:19], s[20:21]
	s_xor_b64 s[24:25], s[24:25], -1
	s_cbranch_vccz .LBB4_672
; %bb.667:                              ;   in Loop: Header=BB4_666 Depth=2
	v_mov_b32_e32 v31, v22
	s_and_saveexec_b64 s[76:77], s[24:25]
	s_cbranch_execz .LBB4_671
; %bb.668:                              ;   in Loop: Header=BB4_666 Depth=2
	s_or_b64 s[22:23], s[18:19], s[20:21]
	v_mov_b32_e32 v31, v18
	s_and_saveexec_b64 s[78:79], s[22:23]
; %bb.669:                              ;   in Loop: Header=BB4_666 Depth=2
	v_cmp_lt_u16_e32 vcc, s95, v26
	v_cmp_gt_f16_e64 s[22:23], v18, v22
	v_cndmask_b32_e64 v0, v22, v18, s[22:23]
	s_and_b64 vcc, s[18:19], vcc
	v_cndmask_b32_e32 v31, v0, v62, vcc
; %bb.670:                              ;   in Loop: Header=BB4_666 Depth=2
	s_or_b64 exec, exec, s[78:79]
.LBB4_671:                              ;   in Loop: Header=BB4_666 Depth=2
	s_or_b64 exec, exec, s[76:77]
	s_mov_b64 s[22:23], 0
.LBB4_672:                              ;   in Loop: Header=BB4_666 Depth=2
	s_andn2_b64 vcc, exec, s[22:23]
	s_cbranch_vccnz .LBB4_678
; %bb.673:                              ;   in Loop: Header=BB4_666 Depth=2
	v_mov_b32_e32 v31, v22
	s_and_saveexec_b64 s[22:23], s[24:25]
	s_cbranch_execz .LBB4_677
; %bb.674:                              ;   in Loop: Header=BB4_666 Depth=2
	s_or_b64 s[20:21], s[18:19], s[20:21]
	v_mov_b32_e32 v31, v18
	s_and_saveexec_b64 s[24:25], s[20:21]
; %bb.675:                              ;   in Loop: Header=BB4_666 Depth=2
	v_cmp_lt_u16_e32 vcc, s95, v26
	v_cmp_gt_f16_e64 s[20:21], v18, v22
	v_cndmask_b32_e64 v0, v18, v22, s[20:21]
	s_and_b64 vcc, s[18:19], vcc
	v_cndmask_b32_e32 v31, v0, v62, vcc
; %bb.676:                              ;   in Loop: Header=BB4_666 Depth=2
	s_or_b64 exec, exec, s[24:25]
.LBB4_677:                              ;   in Loop: Header=BB4_666 Depth=2
	s_or_b64 exec, exec, s[22:23]
.LBB4_678:                              ;   in Loop: Header=BB4_666 Depth=2
	v_perm_b32 v0, v22, v18, s34
	v_lshrrev_b32_e32 v22, 16, v22
	v_lshrrev_b32_e32 v1, 16, v18
	v_and_b32_e32 v18, 0x7fff, v1
	v_and_b32_e32 v26, 0x7fff, v22
	v_cmp_lt_u16_e64 s[18:19], s95, v18
	v_cmp_gt_u16_e64 s[20:21], s31, v26
	s_and_b64 s[24:25], s[18:19], s[20:21]
	s_mov_b64 s[22:23], -1
	s_xor_b64 s[24:25], s[24:25], -1
	s_and_b64 vcc, exec, s[74:75]
                                        ; implicit-def: $vgpr18
	s_cbranch_vccz .LBB4_684
; %bb.679:                              ;   in Loop: Header=BB4_666 Depth=2
	v_mov_b32_e32 v18, v22
	s_and_saveexec_b64 s[76:77], s[24:25]
	s_cbranch_execz .LBB4_683
; %bb.680:                              ;   in Loop: Header=BB4_666 Depth=2
	s_or_b64 s[22:23], s[18:19], s[20:21]
	v_mov_b32_e32 v18, v1
	s_and_saveexec_b64 s[78:79], s[22:23]
; %bb.681:                              ;   in Loop: Header=BB4_666 Depth=2
	v_lshrrev_b32_e32 v18, 16, v0
	v_cmp_lt_u16_e32 vcc, s95, v26
	v_cmp_gt_f16_e64 s[22:23], v0, v18
	v_cndmask_b32_e64 v18, v18, v0, s[22:23]
	s_and_b64 vcc, s[18:19], vcc
	v_cndmask_b32_e32 v18, v18, v62, vcc
; %bb.682:                              ;   in Loop: Header=BB4_666 Depth=2
	s_or_b64 exec, exec, s[78:79]
.LBB4_683:                              ;   in Loop: Header=BB4_666 Depth=2
	s_or_b64 exec, exec, s[76:77]
	s_mov_b64 s[22:23], 0
.LBB4_684:                              ;   in Loop: Header=BB4_666 Depth=2
	s_andn2_b64 vcc, exec, s[22:23]
	s_cbranch_vccnz .LBB4_690
; %bb.685:                              ;   in Loop: Header=BB4_666 Depth=2
	s_and_saveexec_b64 s[22:23], s[24:25]
	s_cbranch_execz .LBB4_689
; %bb.686:                              ;   in Loop: Header=BB4_666 Depth=2
	s_or_b64 s[20:21], s[18:19], s[20:21]
	s_and_saveexec_b64 s[24:25], s[20:21]
; %bb.687:                              ;   in Loop: Header=BB4_666 Depth=2
	v_lshrrev_b32_e32 v1, 16, v0
	v_cmp_lt_u16_e32 vcc, s95, v26
	v_cmp_gt_f16_e64 s[20:21], v0, v1
	v_cndmask_b32_e64 v0, v0, v1, s[20:21]
	s_and_b64 vcc, s[18:19], vcc
	v_cndmask_b32_e32 v1, v0, v62, vcc
; %bb.688:                              ;   in Loop: Header=BB4_666 Depth=2
	s_or_b64 exec, exec, s[24:25]
	v_mov_b32_e32 v22, v1
.LBB4_689:                              ;   in Loop: Header=BB4_666 Depth=2
	s_or_b64 exec, exec, s[22:23]
	v_mov_b32_e32 v18, v22
.LBB4_690:                              ;   in Loop: Header=BB4_666 Depth=2
	v_and_b32_e32 v1, 0x7fff, v19
	v_cmp_lt_u16_e64 s[18:19], s95, v1
	v_and_b32_e32 v1, 0x7fff, v23
	v_cmp_gt_u16_e64 s[20:21], s31, v1
	s_and_b64 s[24:25], s[18:19], s[20:21]
	v_perm_b32 v0, v23, v19, s35
	s_mov_b64 s[22:23], -1
	s_xor_b64 s[24:25], s[24:25], -1
	s_and_b64 vcc, exec, s[74:75]
                                        ; implicit-def: $vgpr22
	s_cbranch_vccz .LBB4_696
; %bb.691:                              ;   in Loop: Header=BB4_666 Depth=2
	v_mov_b32_e32 v22, v23
	s_and_saveexec_b64 s[76:77], s[24:25]
	s_cbranch_execz .LBB4_695
; %bb.692:                              ;   in Loop: Header=BB4_666 Depth=2
	s_or_b64 s[22:23], s[18:19], s[20:21]
	v_mov_b32_e32 v22, v19
	s_and_saveexec_b64 s[78:79], s[22:23]
; %bb.693:                              ;   in Loop: Header=BB4_666 Depth=2
	v_lshrrev_b32_e32 v22, 16, v0
	v_cmp_lt_u16_e32 vcc, s95, v1
	v_cmp_gt_f16_e64 s[22:23], v0, v22
	v_cndmask_b32_e64 v22, v22, v0, s[22:23]
	s_and_b64 vcc, s[18:19], vcc
	v_cndmask_b32_e32 v22, v22, v62, vcc
; %bb.694:                              ;   in Loop: Header=BB4_666 Depth=2
	s_or_b64 exec, exec, s[78:79]
.LBB4_695:                              ;   in Loop: Header=BB4_666 Depth=2
	s_or_b64 exec, exec, s[76:77]
	s_mov_b64 s[22:23], 0
.LBB4_696:                              ;   in Loop: Header=BB4_666 Depth=2
	s_andn2_b64 vcc, exec, s[22:23]
	s_cbranch_vccnz .LBB4_702
; %bb.697:                              ;   in Loop: Header=BB4_666 Depth=2
	v_mov_b32_e32 v22, v23
	s_and_saveexec_b64 s[22:23], s[24:25]
	s_cbranch_execz .LBB4_701
; %bb.698:                              ;   in Loop: Header=BB4_666 Depth=2
	s_or_b64 s[20:21], s[18:19], s[20:21]
	v_mov_b32_e32 v22, v19
	s_and_saveexec_b64 s[24:25], s[20:21]
; %bb.699:                              ;   in Loop: Header=BB4_666 Depth=2
	v_cmp_lt_u16_e32 vcc, s95, v1
	v_lshrrev_b32_e32 v1, 16, v0
	v_cmp_gt_f16_e64 s[20:21], v0, v1
	v_cndmask_b32_e64 v0, v0, v1, s[20:21]
	s_and_b64 vcc, s[18:19], vcc
	v_cndmask_b32_e32 v22, v0, v62, vcc
; %bb.700:                              ;   in Loop: Header=BB4_666 Depth=2
	s_or_b64 exec, exec, s[24:25]
.LBB4_701:                              ;   in Loop: Header=BB4_666 Depth=2
	s_or_b64 exec, exec, s[22:23]
.LBB4_702:                              ;   in Loop: Header=BB4_666 Depth=2
	v_lshrrev_b32_e32 v0, 16, v19
	v_lshrrev_b32_e32 v26, 16, v23
	v_perm_b32 v1, v23, v19, s34
	v_and_b32_e32 v19, 0x7fff, v0
	v_and_b32_e32 v23, 0x7fff, v26
	v_cmp_lt_u16_e64 s[18:19], s95, v19
	v_cmp_gt_u16_e64 s[20:21], s31, v23
	s_and_b64 s[24:25], s[18:19], s[20:21]
	s_mov_b64 s[22:23], -1
	s_xor_b64 s[24:25], s[24:25], -1
	s_and_b64 vcc, exec, s[74:75]
                                        ; implicit-def: $vgpr19
	s_cbranch_vccz .LBB4_708
; %bb.703:                              ;   in Loop: Header=BB4_666 Depth=2
	v_mov_b32_e32 v19, v26
	s_and_saveexec_b64 s[76:77], s[24:25]
	s_cbranch_execz .LBB4_707
; %bb.704:                              ;   in Loop: Header=BB4_666 Depth=2
	s_or_b64 s[22:23], s[18:19], s[20:21]
	v_mov_b32_e32 v19, v0
	s_and_saveexec_b64 s[78:79], s[22:23]
; %bb.705:                              ;   in Loop: Header=BB4_666 Depth=2
	v_lshrrev_b32_e32 v19, 16, v1
	v_cmp_lt_u16_e32 vcc, s95, v23
	v_cmp_gt_f16_e64 s[22:23], v1, v19
	v_cndmask_b32_e64 v19, v19, v1, s[22:23]
	s_and_b64 vcc, s[18:19], vcc
	v_cndmask_b32_e32 v19, v19, v62, vcc
; %bb.706:                              ;   in Loop: Header=BB4_666 Depth=2
	s_or_b64 exec, exec, s[78:79]
.LBB4_707:                              ;   in Loop: Header=BB4_666 Depth=2
	s_or_b64 exec, exec, s[76:77]
	s_mov_b64 s[22:23], 0
.LBB4_708:                              ;   in Loop: Header=BB4_666 Depth=2
	s_andn2_b64 vcc, exec, s[22:23]
	s_cbranch_vccnz .LBB4_714
; %bb.709:                              ;   in Loop: Header=BB4_666 Depth=2
	s_and_saveexec_b64 s[22:23], s[24:25]
	s_cbranch_execz .LBB4_713
; %bb.710:                              ;   in Loop: Header=BB4_666 Depth=2
	s_or_b64 s[20:21], s[18:19], s[20:21]
	s_and_saveexec_b64 s[24:25], s[20:21]
; %bb.711:                              ;   in Loop: Header=BB4_666 Depth=2
	v_lshrrev_b32_e32 v0, 16, v1
	v_cmp_lt_u16_e32 vcc, s95, v23
	v_cmp_gt_f16_e64 s[20:21], v1, v0
	v_cndmask_b32_e64 v0, v1, v0, s[20:21]
	s_and_b64 vcc, s[18:19], vcc
	v_cndmask_b32_e32 v0, v0, v62, vcc
; %bb.712:                              ;   in Loop: Header=BB4_666 Depth=2
	s_or_b64 exec, exec, s[24:25]
	v_mov_b32_e32 v26, v0
.LBB4_713:                              ;   in Loop: Header=BB4_666 Depth=2
	s_or_b64 exec, exec, s[22:23]
	v_mov_b32_e32 v19, v26
.LBB4_714:                              ;   in Loop: Header=BB4_666 Depth=2
	v_and_b32_e32 v0, 0x7fff, v20
	v_cmp_lt_u16_e64 s[18:19], s95, v0
	v_and_b32_e32 v0, 0x7fff, v24
	v_cmp_gt_u16_e64 s[20:21], s31, v0
	s_and_b64 s[24:25], s[18:19], s[20:21]
	s_mov_b64 s[22:23], -1
	s_xor_b64 s[24:25], s[24:25], -1
	s_and_b64 vcc, exec, s[74:75]
                                        ; implicit-def: $vgpr23
	s_cbranch_vccz .LBB4_720
; %bb.715:                              ;   in Loop: Header=BB4_666 Depth=2
	v_mov_b32_e32 v23, v24
	s_and_saveexec_b64 s[76:77], s[24:25]
	s_cbranch_execz .LBB4_719
; %bb.716:                              ;   in Loop: Header=BB4_666 Depth=2
	s_or_b64 s[22:23], s[18:19], s[20:21]
	v_mov_b32_e32 v23, v20
	s_and_saveexec_b64 s[78:79], s[22:23]
; %bb.717:                              ;   in Loop: Header=BB4_666 Depth=2
	v_cmp_lt_u16_e32 vcc, s95, v0
	v_cmp_gt_f16_e64 s[22:23], v20, v24
	v_cndmask_b32_e64 v1, v24, v20, s[22:23]
	s_and_b64 vcc, s[18:19], vcc
	v_cndmask_b32_e32 v23, v1, v62, vcc
; %bb.718:                              ;   in Loop: Header=BB4_666 Depth=2
	s_or_b64 exec, exec, s[78:79]
.LBB4_719:                              ;   in Loop: Header=BB4_666 Depth=2
	s_or_b64 exec, exec, s[76:77]
	s_mov_b64 s[22:23], 0
.LBB4_720:                              ;   in Loop: Header=BB4_666 Depth=2
	s_andn2_b64 vcc, exec, s[22:23]
	s_cbranch_vccnz .LBB4_726
; %bb.721:                              ;   in Loop: Header=BB4_666 Depth=2
	v_mov_b32_e32 v23, v24
	s_and_saveexec_b64 s[22:23], s[24:25]
	s_cbranch_execz .LBB4_725
; %bb.722:                              ;   in Loop: Header=BB4_666 Depth=2
	s_or_b64 s[20:21], s[18:19], s[20:21]
	v_mov_b32_e32 v23, v20
	s_and_saveexec_b64 s[24:25], s[20:21]
; %bb.723:                              ;   in Loop: Header=BB4_666 Depth=2
	v_cmp_lt_u16_e32 vcc, s95, v0
	v_cmp_gt_f16_e64 s[20:21], v20, v24
	v_cndmask_b32_e64 v0, v20, v24, s[20:21]
	s_and_b64 vcc, s[18:19], vcc
	v_cndmask_b32_e32 v23, v0, v62, vcc
; %bb.724:                              ;   in Loop: Header=BB4_666 Depth=2
	s_or_b64 exec, exec, s[24:25]
.LBB4_725:                              ;   in Loop: Header=BB4_666 Depth=2
	s_or_b64 exec, exec, s[22:23]
.LBB4_726:                              ;   in Loop: Header=BB4_666 Depth=2
	v_perm_b32 v0, v24, v20, s34
	v_lshrrev_b32_e32 v24, 16, v24
	v_lshrrev_b32_e32 v1, 16, v20
	v_and_b32_e32 v20, 0x7fff, v1
	v_and_b32_e32 v26, 0x7fff, v24
	v_cmp_lt_u16_e64 s[18:19], s95, v20
	v_cmp_gt_u16_e64 s[20:21], s31, v26
	s_and_b64 s[24:25], s[18:19], s[20:21]
	s_mov_b64 s[22:23], -1
	s_xor_b64 s[24:25], s[24:25], -1
	s_and_b64 vcc, exec, s[74:75]
                                        ; implicit-def: $vgpr20
	s_cbranch_vccz .LBB4_732
; %bb.727:                              ;   in Loop: Header=BB4_666 Depth=2
	v_mov_b32_e32 v20, v24
	s_and_saveexec_b64 s[76:77], s[24:25]
	s_cbranch_execz .LBB4_731
; %bb.728:                              ;   in Loop: Header=BB4_666 Depth=2
	s_or_b64 s[22:23], s[18:19], s[20:21]
	v_mov_b32_e32 v20, v1
	s_and_saveexec_b64 s[78:79], s[22:23]
; %bb.729:                              ;   in Loop: Header=BB4_666 Depth=2
	v_lshrrev_b32_e32 v20, 16, v0
	v_cmp_lt_u16_e32 vcc, s95, v26
	v_cmp_gt_f16_e64 s[22:23], v0, v20
	v_cndmask_b32_e64 v20, v20, v0, s[22:23]
	s_and_b64 vcc, s[18:19], vcc
	v_cndmask_b32_e32 v20, v20, v62, vcc
; %bb.730:                              ;   in Loop: Header=BB4_666 Depth=2
	s_or_b64 exec, exec, s[78:79]
.LBB4_731:                              ;   in Loop: Header=BB4_666 Depth=2
	s_or_b64 exec, exec, s[76:77]
	s_mov_b64 s[22:23], 0
.LBB4_732:                              ;   in Loop: Header=BB4_666 Depth=2
	s_andn2_b64 vcc, exec, s[22:23]
	s_cbranch_vccnz .LBB4_738
; %bb.733:                              ;   in Loop: Header=BB4_666 Depth=2
	s_and_saveexec_b64 s[22:23], s[24:25]
	s_cbranch_execz .LBB4_737
; %bb.734:                              ;   in Loop: Header=BB4_666 Depth=2
	s_or_b64 s[20:21], s[18:19], s[20:21]
	s_and_saveexec_b64 s[24:25], s[20:21]
; %bb.735:                              ;   in Loop: Header=BB4_666 Depth=2
	v_lshrrev_b32_e32 v1, 16, v0
	v_cmp_lt_u16_e32 vcc, s95, v26
	v_cmp_gt_f16_e64 s[20:21], v0, v1
	v_cndmask_b32_e64 v0, v0, v1, s[20:21]
	s_and_b64 vcc, s[18:19], vcc
	v_cndmask_b32_e32 v1, v0, v62, vcc
; %bb.736:                              ;   in Loop: Header=BB4_666 Depth=2
	s_or_b64 exec, exec, s[24:25]
	v_mov_b32_e32 v24, v1
.LBB4_737:                              ;   in Loop: Header=BB4_666 Depth=2
	s_or_b64 exec, exec, s[22:23]
	v_mov_b32_e32 v20, v24
.LBB4_738:                              ;   in Loop: Header=BB4_666 Depth=2
	v_and_b32_e32 v1, 0x7fff, v21
	v_cmp_lt_u16_e64 s[18:19], s95, v1
	v_and_b32_e32 v1, 0x7fff, v25
	v_cmp_gt_u16_e64 s[20:21], s31, v1
	s_and_b64 s[24:25], s[18:19], s[20:21]
	v_perm_b32 v0, v25, v21, s35
	s_mov_b64 s[22:23], -1
	s_xor_b64 s[24:25], s[24:25], -1
	s_and_b64 vcc, exec, s[74:75]
                                        ; implicit-def: $vgpr24
	s_cbranch_vccz .LBB4_744
; %bb.739:                              ;   in Loop: Header=BB4_666 Depth=2
	v_mov_b32_e32 v24, v25
	s_and_saveexec_b64 s[76:77], s[24:25]
	s_cbranch_execz .LBB4_743
; %bb.740:                              ;   in Loop: Header=BB4_666 Depth=2
	s_or_b64 s[22:23], s[18:19], s[20:21]
	v_mov_b32_e32 v24, v21
	s_and_saveexec_b64 s[78:79], s[22:23]
; %bb.741:                              ;   in Loop: Header=BB4_666 Depth=2
	v_lshrrev_b32_e32 v24, 16, v0
	v_cmp_lt_u16_e32 vcc, s95, v1
	v_cmp_gt_f16_e64 s[22:23], v0, v24
	v_cndmask_b32_e64 v24, v24, v0, s[22:23]
	s_and_b64 vcc, s[18:19], vcc
	v_cndmask_b32_e32 v24, v24, v62, vcc
; %bb.742:                              ;   in Loop: Header=BB4_666 Depth=2
	s_or_b64 exec, exec, s[78:79]
.LBB4_743:                              ;   in Loop: Header=BB4_666 Depth=2
	s_or_b64 exec, exec, s[76:77]
	s_mov_b64 s[22:23], 0
.LBB4_744:                              ;   in Loop: Header=BB4_666 Depth=2
	s_andn2_b64 vcc, exec, s[22:23]
	s_cbranch_vccnz .LBB4_750
; %bb.745:                              ;   in Loop: Header=BB4_666 Depth=2
	v_mov_b32_e32 v24, v25
	s_and_saveexec_b64 s[22:23], s[24:25]
	s_cbranch_execz .LBB4_749
; %bb.746:                              ;   in Loop: Header=BB4_666 Depth=2
	s_or_b64 s[20:21], s[18:19], s[20:21]
	v_mov_b32_e32 v24, v21
	s_and_saveexec_b64 s[24:25], s[20:21]
; %bb.747:                              ;   in Loop: Header=BB4_666 Depth=2
	v_cmp_lt_u16_e32 vcc, s95, v1
	v_lshrrev_b32_e32 v1, 16, v0
	v_cmp_gt_f16_e64 s[20:21], v0, v1
	v_cndmask_b32_e64 v0, v0, v1, s[20:21]
	s_and_b64 vcc, s[18:19], vcc
	v_cndmask_b32_e32 v24, v0, v62, vcc
; %bb.748:                              ;   in Loop: Header=BB4_666 Depth=2
	s_or_b64 exec, exec, s[24:25]
.LBB4_749:                              ;   in Loop: Header=BB4_666 Depth=2
	s_or_b64 exec, exec, s[22:23]
.LBB4_750:                              ;   in Loop: Header=BB4_666 Depth=2
	v_lshrrev_b32_e32 v0, 16, v21
	v_lshrrev_b32_e32 v26, 16, v25
	v_perm_b32 v1, v25, v21, s34
	v_and_b32_e32 v21, 0x7fff, v0
	v_and_b32_e32 v25, 0x7fff, v26
	v_cmp_lt_u16_e64 s[18:19], s95, v21
	v_cmp_gt_u16_e64 s[20:21], s31, v25
	s_and_b64 s[24:25], s[18:19], s[20:21]
	s_mov_b64 s[22:23], -1
	s_xor_b64 s[24:25], s[24:25], -1
	s_and_b64 vcc, exec, s[74:75]
                                        ; implicit-def: $vgpr21
	s_cbranch_vccz .LBB4_756
; %bb.751:                              ;   in Loop: Header=BB4_666 Depth=2
	v_mov_b32_e32 v21, v26
	s_and_saveexec_b64 s[76:77], s[24:25]
	s_cbranch_execz .LBB4_755
; %bb.752:                              ;   in Loop: Header=BB4_666 Depth=2
	s_or_b64 s[22:23], s[18:19], s[20:21]
	v_mov_b32_e32 v21, v0
	s_and_saveexec_b64 s[78:79], s[22:23]
; %bb.753:                              ;   in Loop: Header=BB4_666 Depth=2
	v_lshrrev_b32_e32 v21, 16, v1
	v_cmp_lt_u16_e32 vcc, s95, v25
	v_cmp_gt_f16_e64 s[22:23], v1, v21
	v_cndmask_b32_e64 v21, v21, v1, s[22:23]
	s_and_b64 vcc, s[18:19], vcc
	v_cndmask_b32_e32 v21, v21, v62, vcc
; %bb.754:                              ;   in Loop: Header=BB4_666 Depth=2
	s_or_b64 exec, exec, s[78:79]
.LBB4_755:                              ;   in Loop: Header=BB4_666 Depth=2
	s_or_b64 exec, exec, s[76:77]
	s_mov_b64 s[22:23], 0
.LBB4_756:                              ;   in Loop: Header=BB4_666 Depth=2
	s_andn2_b64 vcc, exec, s[22:23]
	s_cbranch_vccnz .LBB4_762
; %bb.757:                              ;   in Loop: Header=BB4_666 Depth=2
	s_and_saveexec_b64 s[22:23], s[24:25]
	s_cbranch_execz .LBB4_761
; %bb.758:                              ;   in Loop: Header=BB4_666 Depth=2
	s_or_b64 s[20:21], s[18:19], s[20:21]
	s_and_saveexec_b64 s[24:25], s[20:21]
; %bb.759:                              ;   in Loop: Header=BB4_666 Depth=2
	v_lshrrev_b32_e32 v0, 16, v1
	v_cmp_lt_u16_e32 vcc, s95, v25
	v_cmp_gt_f16_e64 s[20:21], v1, v0
	v_cndmask_b32_e64 v0, v1, v0, s[20:21]
	s_and_b64 vcc, s[18:19], vcc
	v_cndmask_b32_e32 v0, v0, v62, vcc
; %bb.760:                              ;   in Loop: Header=BB4_666 Depth=2
	s_or_b64 exec, exec, s[24:25]
	v_mov_b32_e32 v26, v0
.LBB4_761:                              ;   in Loop: Header=BB4_666 Depth=2
	s_or_b64 exec, exec, s[22:23]
	v_mov_b32_e32 v21, v26
.LBB4_762:                              ;   in Loop: Header=BB4_666 Depth=2
	v_and_b32_e32 v0, 0x7fff, v10
	v_cmp_lt_u16_e64 s[20:21], s95, v0
	s_waitcnt vmcnt(0)
	v_and_b32_e32 v0, 0x7fff, v14
	v_cmp_gt_u16_e64 s[22:23], s31, v0
	s_and_b64 s[18:19], s[20:21], s[22:23]
	v_cndmask_b32_e64 v1, 0, 1, s[74:75]
	s_mov_b64 s[24:25], -1
	s_xor_b64 s[76:77], s[18:19], -1
	v_cmp_ne_u32_e64 s[18:19], 1, v1
	s_andn2_b64 vcc, exec, s[74:75]
                                        ; implicit-def: $vgpr25
	s_cbranch_vccnz .LBB4_768
; %bb.763:                              ;   in Loop: Header=BB4_666 Depth=2
	v_mov_b32_e32 v25, v14
	s_and_saveexec_b64 s[78:79], s[76:77]
	s_cbranch_execz .LBB4_767
; %bb.764:                              ;   in Loop: Header=BB4_666 Depth=2
	s_or_b64 s[24:25], s[20:21], s[22:23]
	v_mov_b32_e32 v25, v10
	s_and_saveexec_b64 s[88:89], s[24:25]
; %bb.765:                              ;   in Loop: Header=BB4_666 Depth=2
	v_cmp_lt_u16_e32 vcc, s95, v0
	v_cmp_gt_f16_e64 s[24:25], v10, v14
	v_cndmask_b32_e64 v1, v14, v10, s[24:25]
	s_and_b64 vcc, s[20:21], vcc
	v_cndmask_b32_e32 v25, v1, v62, vcc
; %bb.766:                              ;   in Loop: Header=BB4_666 Depth=2
	s_or_b64 exec, exec, s[88:89]
.LBB4_767:                              ;   in Loop: Header=BB4_666 Depth=2
	s_or_b64 exec, exec, s[78:79]
	s_mov_b64 s[24:25], 0
.LBB4_768:                              ;   in Loop: Header=BB4_666 Depth=2
	s_andn2_b64 vcc, exec, s[24:25]
	s_cbranch_vccnz .LBB4_774
; %bb.769:                              ;   in Loop: Header=BB4_666 Depth=2
	v_mov_b32_e32 v25, v14
	s_and_saveexec_b64 s[24:25], s[76:77]
	s_cbranch_execz .LBB4_773
; %bb.770:                              ;   in Loop: Header=BB4_666 Depth=2
	s_or_b64 s[22:23], s[20:21], s[22:23]
	v_mov_b32_e32 v25, v10
	s_and_saveexec_b64 s[76:77], s[22:23]
; %bb.771:                              ;   in Loop: Header=BB4_666 Depth=2
	v_cmp_lt_u16_e32 vcc, s95, v0
	v_cmp_gt_f16_e64 s[22:23], v10, v14
	v_cndmask_b32_e64 v0, v10, v14, s[22:23]
	s_and_b64 vcc, s[20:21], vcc
	v_cndmask_b32_e32 v25, v0, v62, vcc
; %bb.772:                              ;   in Loop: Header=BB4_666 Depth=2
	s_or_b64 exec, exec, s[76:77]
.LBB4_773:                              ;   in Loop: Header=BB4_666 Depth=2
	s_or_b64 exec, exec, s[24:25]
.LBB4_774:                              ;   in Loop: Header=BB4_666 Depth=2
	v_perm_b32 v0, v14, v10, s34
	v_lshrrev_b32_e32 v14, 16, v14
	v_lshrrev_b32_e32 v1, 16, v10
	v_and_b32_e32 v10, 0x7fff, v1
	v_and_b32_e32 v26, 0x7fff, v14
	v_cmp_lt_u16_e64 s[20:21], s95, v10
	v_cmp_gt_u16_e64 s[22:23], s31, v26
	s_and_b64 s[76:77], s[20:21], s[22:23]
	s_mov_b64 s[24:25], -1
	s_and_b64 vcc, exec, s[18:19]
	s_xor_b64 s[76:77], s[76:77], -1
                                        ; implicit-def: $vgpr10
	s_cbranch_vccnz .LBB4_780
; %bb.775:                              ;   in Loop: Header=BB4_666 Depth=2
	v_mov_b32_e32 v10, v14
	s_and_saveexec_b64 s[78:79], s[76:77]
	s_cbranch_execz .LBB4_779
; %bb.776:                              ;   in Loop: Header=BB4_666 Depth=2
	s_or_b64 s[24:25], s[20:21], s[22:23]
	v_mov_b32_e32 v10, v1
	s_and_saveexec_b64 s[88:89], s[24:25]
; %bb.777:                              ;   in Loop: Header=BB4_666 Depth=2
	v_lshrrev_b32_e32 v10, 16, v0
	v_cmp_lt_u16_e32 vcc, s95, v26
	v_cmp_gt_f16_e64 s[24:25], v0, v10
	v_cndmask_b32_e64 v10, v10, v0, s[24:25]
	s_and_b64 vcc, s[20:21], vcc
	v_cndmask_b32_e32 v10, v10, v62, vcc
; %bb.778:                              ;   in Loop: Header=BB4_666 Depth=2
	s_or_b64 exec, exec, s[88:89]
.LBB4_779:                              ;   in Loop: Header=BB4_666 Depth=2
	s_or_b64 exec, exec, s[78:79]
	s_mov_b64 s[24:25], 0
.LBB4_780:                              ;   in Loop: Header=BB4_666 Depth=2
	s_andn2_b64 vcc, exec, s[24:25]
	s_cbranch_vccnz .LBB4_786
; %bb.781:                              ;   in Loop: Header=BB4_666 Depth=2
	s_and_saveexec_b64 s[24:25], s[76:77]
	s_cbranch_execz .LBB4_785
; %bb.782:                              ;   in Loop: Header=BB4_666 Depth=2
	s_or_b64 s[22:23], s[20:21], s[22:23]
	s_and_saveexec_b64 s[76:77], s[22:23]
; %bb.783:                              ;   in Loop: Header=BB4_666 Depth=2
	v_lshrrev_b32_e32 v1, 16, v0
	v_cmp_lt_u16_e32 vcc, s95, v26
	v_cmp_gt_f16_e64 s[22:23], v0, v1
	v_cndmask_b32_e64 v0, v0, v1, s[22:23]
	s_and_b64 vcc, s[20:21], vcc
	v_cndmask_b32_e32 v1, v0, v62, vcc
; %bb.784:                              ;   in Loop: Header=BB4_666 Depth=2
	s_or_b64 exec, exec, s[76:77]
	v_mov_b32_e32 v14, v1
.LBB4_785:                              ;   in Loop: Header=BB4_666 Depth=2
	s_or_b64 exec, exec, s[24:25]
	v_mov_b32_e32 v10, v14
.LBB4_786:                              ;   in Loop: Header=BB4_666 Depth=2
	v_and_b32_e32 v1, 0x7fff, v11
	v_cmp_lt_u16_e64 s[20:21], s95, v1
	v_and_b32_e32 v1, 0x7fff, v15
	v_cmp_gt_u16_e64 s[22:23], s31, v1
	s_and_b64 s[76:77], s[20:21], s[22:23]
	v_perm_b32 v0, v15, v11, s35
	s_mov_b64 s[24:25], -1
	s_and_b64 vcc, exec, s[18:19]
	s_xor_b64 s[76:77], s[76:77], -1
                                        ; implicit-def: $vgpr14
	s_cbranch_vccnz .LBB4_792
; %bb.787:                              ;   in Loop: Header=BB4_666 Depth=2
	v_mov_b32_e32 v14, v15
	s_and_saveexec_b64 s[78:79], s[76:77]
	s_cbranch_execz .LBB4_791
; %bb.788:                              ;   in Loop: Header=BB4_666 Depth=2
	s_or_b64 s[24:25], s[20:21], s[22:23]
	v_mov_b32_e32 v14, v11
	s_and_saveexec_b64 s[88:89], s[24:25]
; %bb.789:                              ;   in Loop: Header=BB4_666 Depth=2
	v_lshrrev_b32_e32 v14, 16, v0
	v_cmp_lt_u16_e32 vcc, s95, v1
	v_cmp_gt_f16_e64 s[24:25], v0, v14
	v_cndmask_b32_e64 v14, v14, v0, s[24:25]
	s_and_b64 vcc, s[20:21], vcc
	v_cndmask_b32_e32 v14, v14, v62, vcc
; %bb.790:                              ;   in Loop: Header=BB4_666 Depth=2
	s_or_b64 exec, exec, s[88:89]
.LBB4_791:                              ;   in Loop: Header=BB4_666 Depth=2
	s_or_b64 exec, exec, s[78:79]
	s_mov_b64 s[24:25], 0
.LBB4_792:                              ;   in Loop: Header=BB4_666 Depth=2
	s_andn2_b64 vcc, exec, s[24:25]
	s_cbranch_vccnz .LBB4_798
; %bb.793:                              ;   in Loop: Header=BB4_666 Depth=2
	v_mov_b32_e32 v14, v15
	s_and_saveexec_b64 s[24:25], s[76:77]
	s_cbranch_execz .LBB4_797
; %bb.794:                              ;   in Loop: Header=BB4_666 Depth=2
	s_or_b64 s[22:23], s[20:21], s[22:23]
	v_mov_b32_e32 v14, v11
	s_and_saveexec_b64 s[76:77], s[22:23]
; %bb.795:                              ;   in Loop: Header=BB4_666 Depth=2
	v_cmp_lt_u16_e32 vcc, s95, v1
	v_lshrrev_b32_e32 v1, 16, v0
	v_cmp_gt_f16_e64 s[22:23], v0, v1
	v_cndmask_b32_e64 v0, v0, v1, s[22:23]
	s_and_b64 vcc, s[20:21], vcc
	v_cndmask_b32_e32 v14, v0, v62, vcc
; %bb.796:                              ;   in Loop: Header=BB4_666 Depth=2
	s_or_b64 exec, exec, s[76:77]
.LBB4_797:                              ;   in Loop: Header=BB4_666 Depth=2
	s_or_b64 exec, exec, s[24:25]
.LBB4_798:                              ;   in Loop: Header=BB4_666 Depth=2
	v_lshrrev_b32_e32 v0, 16, v11
	v_lshrrev_b32_e32 v26, 16, v15
	v_perm_b32 v1, v15, v11, s34
	v_and_b32_e32 v11, 0x7fff, v0
	v_and_b32_e32 v15, 0x7fff, v26
	v_cmp_lt_u16_e64 s[20:21], s95, v11
	v_cmp_gt_u16_e64 s[22:23], s31, v15
	s_and_b64 s[76:77], s[20:21], s[22:23]
	s_mov_b64 s[24:25], -1
	s_and_b64 vcc, exec, s[18:19]
	s_xor_b64 s[76:77], s[76:77], -1
                                        ; implicit-def: $vgpr11
	s_cbranch_vccnz .LBB4_804
; %bb.799:                              ;   in Loop: Header=BB4_666 Depth=2
	v_mov_b32_e32 v11, v26
	s_and_saveexec_b64 s[78:79], s[76:77]
	s_cbranch_execz .LBB4_803
; %bb.800:                              ;   in Loop: Header=BB4_666 Depth=2
	s_or_b64 s[24:25], s[20:21], s[22:23]
	v_mov_b32_e32 v11, v0
	s_and_saveexec_b64 s[88:89], s[24:25]
; %bb.801:                              ;   in Loop: Header=BB4_666 Depth=2
	v_lshrrev_b32_e32 v11, 16, v1
	v_cmp_lt_u16_e32 vcc, s95, v15
	v_cmp_gt_f16_e64 s[24:25], v1, v11
	v_cndmask_b32_e64 v11, v11, v1, s[24:25]
	s_and_b64 vcc, s[20:21], vcc
	v_cndmask_b32_e32 v11, v11, v62, vcc
; %bb.802:                              ;   in Loop: Header=BB4_666 Depth=2
	s_or_b64 exec, exec, s[88:89]
.LBB4_803:                              ;   in Loop: Header=BB4_666 Depth=2
	s_or_b64 exec, exec, s[78:79]
	s_mov_b64 s[24:25], 0
.LBB4_804:                              ;   in Loop: Header=BB4_666 Depth=2
	s_andn2_b64 vcc, exec, s[24:25]
	s_cbranch_vccnz .LBB4_810
; %bb.805:                              ;   in Loop: Header=BB4_666 Depth=2
	s_and_saveexec_b64 s[24:25], s[76:77]
	s_cbranch_execz .LBB4_809
; %bb.806:                              ;   in Loop: Header=BB4_666 Depth=2
	s_or_b64 s[22:23], s[20:21], s[22:23]
	s_and_saveexec_b64 s[76:77], s[22:23]
; %bb.807:                              ;   in Loop: Header=BB4_666 Depth=2
	v_lshrrev_b32_e32 v0, 16, v1
	v_cmp_lt_u16_e32 vcc, s95, v15
	v_cmp_gt_f16_e64 s[22:23], v1, v0
	v_cndmask_b32_e64 v0, v1, v0, s[22:23]
	s_and_b64 vcc, s[20:21], vcc
	v_cndmask_b32_e32 v0, v0, v62, vcc
; %bb.808:                              ;   in Loop: Header=BB4_666 Depth=2
	s_or_b64 exec, exec, s[76:77]
	v_mov_b32_e32 v26, v0
.LBB4_809:                              ;   in Loop: Header=BB4_666 Depth=2
	s_or_b64 exec, exec, s[24:25]
	v_mov_b32_e32 v11, v26
.LBB4_810:                              ;   in Loop: Header=BB4_666 Depth=2
	v_and_b32_e32 v0, 0x7fff, v12
	v_cmp_lt_u16_e64 s[20:21], s95, v0
	v_and_b32_e32 v0, 0x7fff, v16
	v_cmp_gt_u16_e64 s[22:23], s31, v0
	s_and_b64 s[76:77], s[20:21], s[22:23]
	s_mov_b64 s[24:25], -1
	s_and_b64 vcc, exec, s[18:19]
	s_xor_b64 s[76:77], s[76:77], -1
                                        ; implicit-def: $vgpr15
	s_cbranch_vccnz .LBB4_816
; %bb.811:                              ;   in Loop: Header=BB4_666 Depth=2
	v_mov_b32_e32 v15, v16
	s_and_saveexec_b64 s[78:79], s[76:77]
	s_cbranch_execz .LBB4_815
; %bb.812:                              ;   in Loop: Header=BB4_666 Depth=2
	s_or_b64 s[24:25], s[20:21], s[22:23]
	v_mov_b32_e32 v15, v12
	s_and_saveexec_b64 s[88:89], s[24:25]
; %bb.813:                              ;   in Loop: Header=BB4_666 Depth=2
	v_cmp_lt_u16_e32 vcc, s95, v0
	v_cmp_gt_f16_e64 s[24:25], v12, v16
	v_cndmask_b32_e64 v1, v16, v12, s[24:25]
	s_and_b64 vcc, s[20:21], vcc
	v_cndmask_b32_e32 v15, v1, v62, vcc
; %bb.814:                              ;   in Loop: Header=BB4_666 Depth=2
	s_or_b64 exec, exec, s[88:89]
.LBB4_815:                              ;   in Loop: Header=BB4_666 Depth=2
	s_or_b64 exec, exec, s[78:79]
	s_mov_b64 s[24:25], 0
.LBB4_816:                              ;   in Loop: Header=BB4_666 Depth=2
	s_andn2_b64 vcc, exec, s[24:25]
	s_cbranch_vccnz .LBB4_822
; %bb.817:                              ;   in Loop: Header=BB4_666 Depth=2
	v_mov_b32_e32 v15, v16
	s_and_saveexec_b64 s[24:25], s[76:77]
	s_cbranch_execz .LBB4_821
; %bb.818:                              ;   in Loop: Header=BB4_666 Depth=2
	s_or_b64 s[22:23], s[20:21], s[22:23]
	v_mov_b32_e32 v15, v12
	s_and_saveexec_b64 s[76:77], s[22:23]
; %bb.819:                              ;   in Loop: Header=BB4_666 Depth=2
	v_cmp_lt_u16_e32 vcc, s95, v0
	v_cmp_gt_f16_e64 s[22:23], v12, v16
	v_cndmask_b32_e64 v0, v12, v16, s[22:23]
	s_and_b64 vcc, s[20:21], vcc
	v_cndmask_b32_e32 v15, v0, v62, vcc
; %bb.820:                              ;   in Loop: Header=BB4_666 Depth=2
	s_or_b64 exec, exec, s[76:77]
.LBB4_821:                              ;   in Loop: Header=BB4_666 Depth=2
	s_or_b64 exec, exec, s[24:25]
.LBB4_822:                              ;   in Loop: Header=BB4_666 Depth=2
	v_perm_b32 v0, v16, v12, s34
	v_lshrrev_b32_e32 v16, 16, v16
	v_lshrrev_b32_e32 v1, 16, v12
	v_and_b32_e32 v12, 0x7fff, v1
	v_and_b32_e32 v26, 0x7fff, v16
	v_cmp_lt_u16_e64 s[20:21], s95, v12
	v_cmp_gt_u16_e64 s[22:23], s31, v26
	s_and_b64 s[76:77], s[20:21], s[22:23]
	s_mov_b64 s[24:25], -1
	s_and_b64 vcc, exec, s[18:19]
	s_xor_b64 s[76:77], s[76:77], -1
                                        ; implicit-def: $vgpr12
	s_cbranch_vccnz .LBB4_828
; %bb.823:                              ;   in Loop: Header=BB4_666 Depth=2
	v_mov_b32_e32 v12, v16
	s_and_saveexec_b64 s[78:79], s[76:77]
	s_cbranch_execz .LBB4_827
; %bb.824:                              ;   in Loop: Header=BB4_666 Depth=2
	s_or_b64 s[24:25], s[20:21], s[22:23]
	v_mov_b32_e32 v12, v1
	s_and_saveexec_b64 s[88:89], s[24:25]
; %bb.825:                              ;   in Loop: Header=BB4_666 Depth=2
	v_lshrrev_b32_e32 v12, 16, v0
	v_cmp_lt_u16_e32 vcc, s95, v26
	v_cmp_gt_f16_e64 s[24:25], v0, v12
	v_cndmask_b32_e64 v12, v12, v0, s[24:25]
	s_and_b64 vcc, s[20:21], vcc
	v_cndmask_b32_e32 v12, v12, v62, vcc
; %bb.826:                              ;   in Loop: Header=BB4_666 Depth=2
	s_or_b64 exec, exec, s[88:89]
.LBB4_827:                              ;   in Loop: Header=BB4_666 Depth=2
	s_or_b64 exec, exec, s[78:79]
	s_mov_b64 s[24:25], 0
.LBB4_828:                              ;   in Loop: Header=BB4_666 Depth=2
	s_andn2_b64 vcc, exec, s[24:25]
	s_cbranch_vccnz .LBB4_834
; %bb.829:                              ;   in Loop: Header=BB4_666 Depth=2
	s_and_saveexec_b64 s[24:25], s[76:77]
	s_cbranch_execz .LBB4_833
; %bb.830:                              ;   in Loop: Header=BB4_666 Depth=2
	s_or_b64 s[22:23], s[20:21], s[22:23]
	s_and_saveexec_b64 s[76:77], s[22:23]
; %bb.831:                              ;   in Loop: Header=BB4_666 Depth=2
	v_lshrrev_b32_e32 v1, 16, v0
	v_cmp_lt_u16_e32 vcc, s95, v26
	v_cmp_gt_f16_e64 s[22:23], v0, v1
	v_cndmask_b32_e64 v0, v0, v1, s[22:23]
	s_and_b64 vcc, s[20:21], vcc
	v_cndmask_b32_e32 v1, v0, v62, vcc
; %bb.832:                              ;   in Loop: Header=BB4_666 Depth=2
	s_or_b64 exec, exec, s[76:77]
	v_mov_b32_e32 v16, v1
.LBB4_833:                              ;   in Loop: Header=BB4_666 Depth=2
	s_or_b64 exec, exec, s[24:25]
	v_mov_b32_e32 v12, v16
.LBB4_834:                              ;   in Loop: Header=BB4_666 Depth=2
	v_and_b32_e32 v1, 0x7fff, v13
	v_cmp_lt_u16_e64 s[20:21], s95, v1
	v_and_b32_e32 v1, 0x7fff, v17
	v_cmp_gt_u16_e64 s[22:23], s31, v1
	s_and_b64 s[76:77], s[20:21], s[22:23]
	v_perm_b32 v0, v17, v13, s35
	s_mov_b64 s[24:25], -1
	s_and_b64 vcc, exec, s[18:19]
	s_xor_b64 s[76:77], s[76:77], -1
                                        ; implicit-def: $vgpr16
	s_cbranch_vccnz .LBB4_840
; %bb.835:                              ;   in Loop: Header=BB4_666 Depth=2
	v_mov_b32_e32 v16, v17
	s_and_saveexec_b64 s[78:79], s[76:77]
	s_cbranch_execz .LBB4_839
; %bb.836:                              ;   in Loop: Header=BB4_666 Depth=2
	s_or_b64 s[24:25], s[20:21], s[22:23]
	v_mov_b32_e32 v16, v13
	s_and_saveexec_b64 s[88:89], s[24:25]
; %bb.837:                              ;   in Loop: Header=BB4_666 Depth=2
	v_lshrrev_b32_e32 v16, 16, v0
	v_cmp_lt_u16_e32 vcc, s95, v1
	v_cmp_gt_f16_e64 s[24:25], v0, v16
	v_cndmask_b32_e64 v16, v16, v0, s[24:25]
	s_and_b64 vcc, s[20:21], vcc
	v_cndmask_b32_e32 v16, v16, v62, vcc
; %bb.838:                              ;   in Loop: Header=BB4_666 Depth=2
	s_or_b64 exec, exec, s[88:89]
.LBB4_839:                              ;   in Loop: Header=BB4_666 Depth=2
	s_or_b64 exec, exec, s[78:79]
	s_mov_b64 s[24:25], 0
.LBB4_840:                              ;   in Loop: Header=BB4_666 Depth=2
	s_andn2_b64 vcc, exec, s[24:25]
	s_cbranch_vccnz .LBB4_846
; %bb.841:                              ;   in Loop: Header=BB4_666 Depth=2
	v_mov_b32_e32 v16, v17
	s_and_saveexec_b64 s[24:25], s[76:77]
	s_cbranch_execz .LBB4_845
; %bb.842:                              ;   in Loop: Header=BB4_666 Depth=2
	s_or_b64 s[22:23], s[20:21], s[22:23]
	v_mov_b32_e32 v16, v13
	s_and_saveexec_b64 s[76:77], s[22:23]
; %bb.843:                              ;   in Loop: Header=BB4_666 Depth=2
	v_cmp_lt_u16_e32 vcc, s95, v1
	v_lshrrev_b32_e32 v1, 16, v0
	v_cmp_gt_f16_e64 s[22:23], v0, v1
	v_cndmask_b32_e64 v0, v0, v1, s[22:23]
	s_and_b64 vcc, s[20:21], vcc
	v_cndmask_b32_e32 v16, v0, v62, vcc
; %bb.844:                              ;   in Loop: Header=BB4_666 Depth=2
	s_or_b64 exec, exec, s[76:77]
.LBB4_845:                              ;   in Loop: Header=BB4_666 Depth=2
	s_or_b64 exec, exec, s[24:25]
.LBB4_846:                              ;   in Loop: Header=BB4_666 Depth=2
	v_lshrrev_b32_e32 v0, 16, v13
	v_lshrrev_b32_e32 v26, 16, v17
	v_perm_b32 v1, v17, v13, s34
	v_and_b32_e32 v13, 0x7fff, v0
	v_cmp_lt_u16_e64 s[20:21], s95, v13
	v_and_b32_e32 v13, 0x7fff, v26
	v_cmp_gt_u16_e64 s[22:23], s31, v13
	s_and_b64 s[24:25], s[20:21], s[22:23]
	s_mov_b64 s[76:77], -1
	s_and_b64 vcc, exec, s[18:19]
	s_xor_b64 s[24:25], s[24:25], -1
                                        ; implicit-def: $vgpr17
	s_cbranch_vccnz .LBB4_852
; %bb.847:                              ;   in Loop: Header=BB4_666 Depth=2
	v_mov_b32_e32 v17, v26
	s_and_saveexec_b64 s[76:77], s[24:25]
	s_cbranch_execz .LBB4_851
; %bb.848:                              ;   in Loop: Header=BB4_666 Depth=2
	s_or_b64 s[18:19], s[20:21], s[22:23]
	v_mov_b32_e32 v17, v0
	s_and_saveexec_b64 s[78:79], s[18:19]
; %bb.849:                              ;   in Loop: Header=BB4_666 Depth=2
	v_lshrrev_b32_e32 v17, 16, v1
	v_cmp_lt_u16_e32 vcc, s95, v13
	v_cmp_gt_f16_e64 s[18:19], v1, v17
	v_cndmask_b32_e64 v17, v17, v1, s[18:19]
	s_and_b64 vcc, s[20:21], vcc
	v_cndmask_b32_e32 v17, v17, v62, vcc
; %bb.850:                              ;   in Loop: Header=BB4_666 Depth=2
	s_or_b64 exec, exec, s[78:79]
.LBB4_851:                              ;   in Loop: Header=BB4_666 Depth=2
	s_or_b64 exec, exec, s[76:77]
	s_mov_b64 s[76:77], 0
.LBB4_852:                              ;   in Loop: Header=BB4_666 Depth=2
	s_andn2_b64 vcc, exec, s[76:77]
	s_cbranch_vccnz .LBB4_665
; %bb.853:                              ;   in Loop: Header=BB4_666 Depth=2
	s_and_saveexec_b64 s[76:77], s[24:25]
	s_cbranch_execz .LBB4_664
; %bb.854:                              ;   in Loop: Header=BB4_666 Depth=2
	s_or_b64 s[18:19], s[20:21], s[22:23]
	s_and_saveexec_b64 s[22:23], s[18:19]
	s_cbranch_execz .LBB4_663
; %bb.855:                              ;   in Loop: Header=BB4_666 Depth=2
	v_lshrrev_b32_e32 v0, 16, v1
	v_cmp_lt_u16_e32 vcc, s95, v13
	v_cmp_gt_f16_e64 s[18:19], v1, v0
	v_cndmask_b32_e64 v0, v1, v0, s[18:19]
	s_and_b64 vcc, s[20:21], vcc
	v_cndmask_b32_e32 v0, v0, v62, vcc
	s_branch .LBB4_663
.LBB4_856:                              ;   in Loop: Header=BB4_589 Depth=1
	s_or_b64 exec, exec, s[72:73]
	buffer_load_dword v56, off, s[0:3], s33 offset:80 ; 4-byte Folded Reload
	buffer_load_dword v45, off, s[0:3], s33 offset:68 ; 4-byte Folded Reload
	;; [unrolled: 1-line block ×3, first 2 shown]
	v_mov_b32_e32 v20, v27
.LBB4_857:                              ;   in Loop: Header=BB4_589 Depth=1
	s_or_b64 exec, exec, s[62:63]
	v_lshlrev_b32_e32 v24, 11, v3
	v_cmp_ne_u32_e32 vcc, v28, v24
	s_mov_b64 s[18:19], 0
	v_mov_b32_e32 v3, 0
                                        ; implicit-def: $vgpr16
	s_and_saveexec_b64 s[62:63], vcc
	s_cbranch_execz .LBB4_927
; %bb.858:                              ;   in Loop: Header=BB4_589 Depth=1
	buffer_load_dword v3, off, s[0:3], s33 offset:116 ; 4-byte Folded Reload
	v_lshlrev_b32_e32 v0, 6, v29
	v_sub_u32_e32 v1, v28, v24
	s_waitcnt vmcnt(0)
	v_sub_u32_e32 v0, v3, v0
	v_ashrrev_i32_e32 v3, 31, v0
	v_lshrrev_b32_e32 v3, 26, v3
	v_add_u32_e32 v3, v0, v3
	v_ashrrev_i32_e32 v10, 6, v3
	v_and_b32_e32 v3, 0xffffffc0, v3
	v_sub_u32_e32 v25, v0, v3
	v_ashrrev_i32_e32 v3, 31, v1
	v_lshrrev_b32_e32 v3, 22, v3
	v_add_u32_e32 v3, v1, v3
	v_ashrrev_i32_e32 v11, 10, v3
	v_and_b32_e32 v3, 0xfffffc00, v3
	v_lshlrev_b32_e32 v0, 4, v25
	v_sub_u32_e32 v29, v1, v3
	v_lshl_add_u32 v0, v10, 10, v0
	v_cmp_lt_i32_e64 s[18:19], 15, v29
	v_sub_u32_e32 v55, v1, v0
	v_addc_co_u32_e64 v1, vcc, 0, v11, s[18:19]
	v_sub_u32_e32 v31, v1, v10
	v_cmp_lt_i32_e32 vcc, 15, v55
	s_and_saveexec_b64 s[72:73], vcc
	s_cbranch_execz .LBB4_926
; %bb.859:                              ;   in Loop: Header=BB4_589 Depth=1
	v_add_u32_e32 v10, v0, v24
	s_trap 2
	ds_read_b64 v[0:1], v0
	v_ashrrev_i32_e32 v11, 31, v10
	v_add_co_u32_e32 v18, vcc, v10, v40
	v_addc_co_u32_e32 v19, vcc, v11, v41, vcc
	v_mov_b32_e32 v26, v20
	s_waitcnt lgkmcnt(0)
	v_add_co_u32_e32 v20, vcc, v0, v10
	v_addc_co_u32_e32 v21, vcc, v1, v11, vcc
	v_add_co_u32_e32 v22, vcc, v10, v42
	s_bitcmp1_b32 s92, 0
	v_addc_co_u32_e32 v23, vcc, v11, v43, vcc
	s_mov_b64 s[74:75], 0
	s_cselect_b64 s[76:77], -1, 0
	s_branch .LBB4_862
.LBB4_860:                              ;   in Loop: Header=BB4_862 Depth=2
	s_or_b64 exec, exec, s[88:89]
	v_mov_b32_e32 v13, v0
.LBB4_861:                              ;   in Loop: Header=BB4_862 Depth=2
	v_lshlrev_b32_e32 v0, 16, v11
	v_and_b32_e32 v1, 0xffff, v14
	v_lshlrev_b32_e32 v10, 16, v10
	v_and_b32_e32 v11, 0xffff, v44
	v_add_co_u32_e32 v18, vcc, v18, v58
	v_or_b32_e32 v10, v10, v11
	v_or3_b32 v11, v0, v1, 0
	v_lshlrev_b32_e32 v0, 16, v12
	v_and_b32_e32 v1, 0xffff, v15
	v_addc_co_u32_e32 v19, vcc, 0, v19, vcc
	v_or_b32_e32 v0, v0, v1
	v_lshlrev_b32_e32 v1, 16, v13
	v_and_b32_e32 v12, 0xffff, v16
	v_add_co_u32_e32 v20, vcc, v20, v58
	v_or3_b32 v10, 0, 0, v10
	v_or3_b32 v13, v1, v12, 0
	;; [unrolled: 1-line block ×3, first 2 shown]
	v_addc_co_u32_e32 v21, vcc, 0, v21, vcc
	global_store_dwordx4 v[22:23], v[10:13], off glc slc
	v_add_co_u32_e32 v22, vcc, v22, v58
	v_addc_co_u32_e32 v23, vcc, 0, v23, vcc
	v_sub_u32_e32 v55, v55, v58
	v_cmp_gt_i32_e32 vcc, 16, v55
	s_or_b64 s[74:75], vcc, s[74:75]
	v_sub_u32_e32 v31, v31, v2
	s_andn2_b64 exec, exec, s[74:75]
	s_cbranch_execz .LBB4_925
.LBB4_862:                              ;   Parent Loop BB4_589 Depth=1
                                        ; =>  This Inner Loop Header: Depth=2
	global_load_dwordx4 v[10:13], v[18:19], off glc slc
	global_load_dwordx4 v[14:17], v[20:21], off glc slc
	s_mov_b64 s[88:89], -1
	s_and_b64 vcc, exec, s[76:77]
                                        ; implicit-def: $vgpr44
	s_waitcnt vmcnt(0)
	v_and_b32_e32 v0, 0x7fff, v14
	v_cmp_gt_u16_e64 s[20:21], s31, v0
	v_cmp_lt_u16_e64 s[22:23], s95, v0
	v_and_b32_e32 v0, 0x7fff, v10
	v_cmp_lt_u16_e64 s[24:25], s95, v0
	s_and_b64 s[78:79], s[24:25], s[20:21]
	s_xor_b64 s[78:79], s[78:79], -1
	s_cbranch_vccz .LBB4_866
; %bb.863:                              ;   in Loop: Header=BB4_862 Depth=2
	v_mov_b32_e32 v44, v14
	s_and_saveexec_b64 s[88:89], s[78:79]
; %bb.864:                              ;   in Loop: Header=BB4_862 Depth=2
	v_cmp_gt_f16_e32 vcc, v10, v14
	v_cndmask_b32_e32 v0, v14, v10, vcc
	s_and_b64 vcc, s[24:25], s[22:23]
	v_cndmask_b32_e32 v0, v0, v62, vcc
	s_or_b64 vcc, s[24:25], s[20:21]
	v_cndmask_b32_e32 v44, v10, v0, vcc
; %bb.865:                              ;   in Loop: Header=BB4_862 Depth=2
	s_or_b64 exec, exec, s[88:89]
	s_mov_b64 s[88:89], 0
.LBB4_866:                              ;   in Loop: Header=BB4_862 Depth=2
	s_andn2_b64 vcc, exec, s[88:89]
	s_cbranch_vccnz .LBB4_870
; %bb.867:                              ;   in Loop: Header=BB4_862 Depth=2
	v_mov_b32_e32 v44, v14
	s_and_saveexec_b64 s[88:89], s[78:79]
; %bb.868:                              ;   in Loop: Header=BB4_862 Depth=2
	v_cmp_gt_f16_e32 vcc, v10, v14
	v_cndmask_b32_e32 v0, v10, v14, vcc
	s_and_b64 vcc, s[24:25], s[22:23]
	v_cndmask_b32_e32 v0, v0, v62, vcc
	s_or_b64 vcc, s[24:25], s[20:21]
	v_cndmask_b32_e32 v44, v10, v0, vcc
; %bb.869:                              ;   in Loop: Header=BB4_862 Depth=2
	s_or_b64 exec, exec, s[88:89]
.LBB4_870:                              ;   in Loop: Header=BB4_862 Depth=2
	v_lshrrev_b32_e32 v0, 16, v14
	v_and_b32_e32 v1, 0x7fff, v0
	v_cmp_gt_u16_e64 s[20:21], s31, v1
	v_cmp_lt_u16_e64 s[22:23], s95, v1
	v_lshrrev_b32_e32 v1, 16, v10
	v_and_b32_e32 v10, 0x7fff, v1
	v_cmp_lt_u16_e64 s[24:25], s95, v10
	s_and_b64 s[78:79], s[24:25], s[20:21]
	s_mov_b64 s[88:89], -1
	s_xor_b64 s[78:79], s[78:79], -1
	s_and_b64 vcc, exec, s[76:77]
                                        ; implicit-def: $vgpr10
	s_cbranch_vccz .LBB4_874
; %bb.871:                              ;   in Loop: Header=BB4_862 Depth=2
	v_mov_b32_e32 v10, v0
	s_and_saveexec_b64 s[88:89], s[78:79]
; %bb.872:                              ;   in Loop: Header=BB4_862 Depth=2
	v_cmp_gt_f16_e32 vcc, v1, v0
	v_cndmask_b32_e32 v10, v0, v1, vcc
	s_and_b64 vcc, s[24:25], s[22:23]
	v_cndmask_b32_e32 v10, v10, v62, vcc
	s_or_b64 vcc, s[24:25], s[20:21]
	v_cndmask_b32_e32 v10, v1, v10, vcc
; %bb.873:                              ;   in Loop: Header=BB4_862 Depth=2
	s_or_b64 exec, exec, s[88:89]
	s_mov_b64 s[88:89], 0
.LBB4_874:                              ;   in Loop: Header=BB4_862 Depth=2
	s_andn2_b64 vcc, exec, s[88:89]
	s_cbranch_vccnz .LBB4_878
; %bb.875:                              ;   in Loop: Header=BB4_862 Depth=2
	s_and_saveexec_b64 s[88:89], s[78:79]
; %bb.876:                              ;   in Loop: Header=BB4_862 Depth=2
	v_cmp_gt_f16_e32 vcc, v1, v0
	v_cndmask_b32_e32 v0, v1, v0, vcc
	s_and_b64 vcc, s[24:25], s[22:23]
	v_cndmask_b32_e32 v0, v0, v62, vcc
	s_or_b64 vcc, s[24:25], s[20:21]
	v_cndmask_b32_e32 v0, v1, v0, vcc
; %bb.877:                              ;   in Loop: Header=BB4_862 Depth=2
	s_or_b64 exec, exec, s[88:89]
	v_mov_b32_e32 v10, v0
.LBB4_878:                              ;   in Loop: Header=BB4_862 Depth=2
	v_and_b32_e32 v0, 0x7fff, v15
	v_cmp_gt_u16_e64 s[20:21], s31, v0
	v_cmp_lt_u16_e64 s[22:23], s95, v0
	v_and_b32_e32 v0, 0x7fff, v11
	v_cmp_lt_u16_e64 s[24:25], s95, v0
	s_and_b64 s[78:79], s[24:25], s[20:21]
	s_mov_b64 s[88:89], -1
	s_xor_b64 s[78:79], s[78:79], -1
	s_and_b64 vcc, exec, s[76:77]
                                        ; implicit-def: $vgpr14
	s_cbranch_vccz .LBB4_882
; %bb.879:                              ;   in Loop: Header=BB4_862 Depth=2
	v_mov_b32_e32 v14, v15
	s_and_saveexec_b64 s[88:89], s[78:79]
; %bb.880:                              ;   in Loop: Header=BB4_862 Depth=2
	v_cmp_gt_f16_e32 vcc, v11, v15
	v_cndmask_b32_e32 v0, v15, v11, vcc
	s_and_b64 vcc, s[24:25], s[22:23]
	v_cndmask_b32_e32 v0, v0, v62, vcc
	s_or_b64 vcc, s[24:25], s[20:21]
	v_cndmask_b32_e32 v14, v11, v0, vcc
; %bb.881:                              ;   in Loop: Header=BB4_862 Depth=2
	s_or_b64 exec, exec, s[88:89]
	s_mov_b64 s[88:89], 0
.LBB4_882:                              ;   in Loop: Header=BB4_862 Depth=2
	s_andn2_b64 vcc, exec, s[88:89]
	s_cbranch_vccnz .LBB4_886
; %bb.883:                              ;   in Loop: Header=BB4_862 Depth=2
	v_mov_b32_e32 v14, v15
	s_and_saveexec_b64 s[88:89], s[78:79]
; %bb.884:                              ;   in Loop: Header=BB4_862 Depth=2
	v_cmp_gt_f16_e32 vcc, v11, v15
	v_cndmask_b32_e32 v0, v11, v15, vcc
	s_and_b64 vcc, s[24:25], s[22:23]
	v_cndmask_b32_e32 v0, v0, v62, vcc
	s_or_b64 vcc, s[24:25], s[20:21]
	v_cndmask_b32_e32 v14, v11, v0, vcc
; %bb.885:                              ;   in Loop: Header=BB4_862 Depth=2
	s_or_b64 exec, exec, s[88:89]
.LBB4_886:                              ;   in Loop: Header=BB4_862 Depth=2
	v_lshrrev_b32_e32 v0, 16, v15
	v_lshrrev_b32_e32 v1, 16, v11
	v_and_b32_e32 v11, 0x7fff, v0
	v_cmp_gt_u16_e64 s[20:21], s31, v11
	v_cmp_lt_u16_e64 s[22:23], s95, v11
	v_and_b32_e32 v11, 0x7fff, v1
	v_cmp_lt_u16_e64 s[24:25], s95, v11
	s_and_b64 s[78:79], s[24:25], s[20:21]
	s_mov_b64 s[88:89], -1
	s_xor_b64 s[78:79], s[78:79], -1
	s_and_b64 vcc, exec, s[76:77]
                                        ; implicit-def: $vgpr11
	s_cbranch_vccz .LBB4_890
; %bb.887:                              ;   in Loop: Header=BB4_862 Depth=2
	v_mov_b32_e32 v11, v0
	s_and_saveexec_b64 s[88:89], s[78:79]
; %bb.888:                              ;   in Loop: Header=BB4_862 Depth=2
	v_cmp_gt_f16_e32 vcc, v1, v0
	v_cndmask_b32_e32 v11, v0, v1, vcc
	s_and_b64 vcc, s[24:25], s[22:23]
	v_cndmask_b32_e32 v11, v11, v62, vcc
	s_or_b64 vcc, s[24:25], s[20:21]
	v_cndmask_b32_e32 v11, v1, v11, vcc
; %bb.889:                              ;   in Loop: Header=BB4_862 Depth=2
	s_or_b64 exec, exec, s[88:89]
	s_mov_b64 s[88:89], 0
.LBB4_890:                              ;   in Loop: Header=BB4_862 Depth=2
	s_andn2_b64 vcc, exec, s[88:89]
	s_cbranch_vccnz .LBB4_894
; %bb.891:                              ;   in Loop: Header=BB4_862 Depth=2
	s_and_saveexec_b64 s[88:89], s[78:79]
; %bb.892:                              ;   in Loop: Header=BB4_862 Depth=2
	v_cmp_gt_f16_e32 vcc, v1, v0
	v_cndmask_b32_e32 v0, v1, v0, vcc
	s_and_b64 vcc, s[24:25], s[22:23]
	v_cndmask_b32_e32 v0, v0, v62, vcc
	s_or_b64 vcc, s[24:25], s[20:21]
	v_cndmask_b32_e32 v0, v1, v0, vcc
; %bb.893:                              ;   in Loop: Header=BB4_862 Depth=2
	s_or_b64 exec, exec, s[88:89]
	v_mov_b32_e32 v11, v0
.LBB4_894:                              ;   in Loop: Header=BB4_862 Depth=2
	v_and_b32_e32 v0, 0x7fff, v16
	v_cmp_gt_u16_e64 s[20:21], s31, v0
	v_cmp_lt_u16_e64 s[22:23], s95, v0
	v_and_b32_e32 v0, 0x7fff, v12
	v_cmp_lt_u16_e64 s[24:25], s95, v0
	s_and_b64 s[78:79], s[24:25], s[20:21]
	s_mov_b64 s[88:89], -1
	s_xor_b64 s[78:79], s[78:79], -1
	s_and_b64 vcc, exec, s[76:77]
                                        ; implicit-def: $vgpr15
	s_cbranch_vccz .LBB4_898
; %bb.895:                              ;   in Loop: Header=BB4_862 Depth=2
	v_mov_b32_e32 v15, v16
	s_and_saveexec_b64 s[88:89], s[78:79]
; %bb.896:                              ;   in Loop: Header=BB4_862 Depth=2
	v_cmp_gt_f16_e32 vcc, v12, v16
	v_cndmask_b32_e32 v0, v16, v12, vcc
	s_and_b64 vcc, s[24:25], s[22:23]
	v_cndmask_b32_e32 v0, v0, v62, vcc
	s_or_b64 vcc, s[24:25], s[20:21]
	v_cndmask_b32_e32 v15, v12, v0, vcc
; %bb.897:                              ;   in Loop: Header=BB4_862 Depth=2
	s_or_b64 exec, exec, s[88:89]
	s_mov_b64 s[88:89], 0
.LBB4_898:                              ;   in Loop: Header=BB4_862 Depth=2
	s_andn2_b64 vcc, exec, s[88:89]
	s_cbranch_vccnz .LBB4_902
; %bb.899:                              ;   in Loop: Header=BB4_862 Depth=2
	v_mov_b32_e32 v15, v16
	s_and_saveexec_b64 s[88:89], s[78:79]
; %bb.900:                              ;   in Loop: Header=BB4_862 Depth=2
	v_cmp_gt_f16_e32 vcc, v12, v16
	v_cndmask_b32_e32 v0, v12, v16, vcc
	s_and_b64 vcc, s[24:25], s[22:23]
	v_cndmask_b32_e32 v0, v0, v62, vcc
	s_or_b64 vcc, s[24:25], s[20:21]
	v_cndmask_b32_e32 v15, v12, v0, vcc
; %bb.901:                              ;   in Loop: Header=BB4_862 Depth=2
	s_or_b64 exec, exec, s[88:89]
.LBB4_902:                              ;   in Loop: Header=BB4_862 Depth=2
	v_lshrrev_b32_e32 v0, 16, v16
	v_lshrrev_b32_e32 v1, 16, v12
	v_and_b32_e32 v12, 0x7fff, v0
	v_cmp_gt_u16_e64 s[20:21], s31, v12
	v_cmp_lt_u16_e64 s[22:23], s95, v12
	v_and_b32_e32 v12, 0x7fff, v1
	v_cmp_lt_u16_e64 s[24:25], s95, v12
	s_and_b64 s[78:79], s[24:25], s[20:21]
	s_mov_b64 s[88:89], -1
	s_xor_b64 s[78:79], s[78:79], -1
	s_and_b64 vcc, exec, s[76:77]
                                        ; implicit-def: $vgpr12
	s_cbranch_vccz .LBB4_906
; %bb.903:                              ;   in Loop: Header=BB4_862 Depth=2
	v_mov_b32_e32 v12, v0
	s_and_saveexec_b64 s[88:89], s[78:79]
; %bb.904:                              ;   in Loop: Header=BB4_862 Depth=2
	v_cmp_gt_f16_e32 vcc, v1, v0
	v_cndmask_b32_e32 v12, v0, v1, vcc
	s_and_b64 vcc, s[24:25], s[22:23]
	v_cndmask_b32_e32 v12, v12, v62, vcc
	s_or_b64 vcc, s[24:25], s[20:21]
	v_cndmask_b32_e32 v12, v1, v12, vcc
; %bb.905:                              ;   in Loop: Header=BB4_862 Depth=2
	s_or_b64 exec, exec, s[88:89]
	s_mov_b64 s[88:89], 0
.LBB4_906:                              ;   in Loop: Header=BB4_862 Depth=2
	s_andn2_b64 vcc, exec, s[88:89]
	s_cbranch_vccnz .LBB4_910
; %bb.907:                              ;   in Loop: Header=BB4_862 Depth=2
	s_and_saveexec_b64 s[88:89], s[78:79]
; %bb.908:                              ;   in Loop: Header=BB4_862 Depth=2
	v_cmp_gt_f16_e32 vcc, v1, v0
	v_cndmask_b32_e32 v0, v1, v0, vcc
	s_and_b64 vcc, s[24:25], s[22:23]
	v_cndmask_b32_e32 v0, v0, v62, vcc
	s_or_b64 vcc, s[24:25], s[20:21]
	v_cndmask_b32_e32 v0, v1, v0, vcc
; %bb.909:                              ;   in Loop: Header=BB4_862 Depth=2
	s_or_b64 exec, exec, s[88:89]
	v_mov_b32_e32 v12, v0
.LBB4_910:                              ;   in Loop: Header=BB4_862 Depth=2
	v_and_b32_e32 v0, 0x7fff, v17
	v_cmp_gt_u16_e64 s[20:21], s31, v0
	v_cmp_lt_u16_e64 s[22:23], s95, v0
	v_and_b32_e32 v0, 0x7fff, v13
	v_cmp_lt_u16_e64 s[24:25], s95, v0
	s_and_b64 s[78:79], s[24:25], s[20:21]
	s_mov_b64 s[88:89], -1
	s_xor_b64 s[78:79], s[78:79], -1
	s_and_b64 vcc, exec, s[76:77]
                                        ; implicit-def: $vgpr16
	s_cbranch_vccz .LBB4_914
; %bb.911:                              ;   in Loop: Header=BB4_862 Depth=2
	v_mov_b32_e32 v16, v17
	s_and_saveexec_b64 s[88:89], s[78:79]
; %bb.912:                              ;   in Loop: Header=BB4_862 Depth=2
	v_cmp_gt_f16_e32 vcc, v13, v17
	v_cndmask_b32_e32 v0, v17, v13, vcc
	s_and_b64 vcc, s[24:25], s[22:23]
	v_cndmask_b32_e32 v0, v0, v62, vcc
	s_or_b64 vcc, s[24:25], s[20:21]
	v_cndmask_b32_e32 v16, v13, v0, vcc
; %bb.913:                              ;   in Loop: Header=BB4_862 Depth=2
	s_or_b64 exec, exec, s[88:89]
	s_mov_b64 s[88:89], 0
.LBB4_914:                              ;   in Loop: Header=BB4_862 Depth=2
	s_andn2_b64 vcc, exec, s[88:89]
	s_cbranch_vccnz .LBB4_918
; %bb.915:                              ;   in Loop: Header=BB4_862 Depth=2
	v_mov_b32_e32 v16, v17
	s_and_saveexec_b64 s[88:89], s[78:79]
; %bb.916:                              ;   in Loop: Header=BB4_862 Depth=2
	v_cmp_gt_f16_e32 vcc, v13, v17
	v_cndmask_b32_e32 v0, v13, v17, vcc
	s_and_b64 vcc, s[24:25], s[22:23]
	v_cndmask_b32_e32 v0, v0, v62, vcc
	s_or_b64 vcc, s[24:25], s[20:21]
	v_cndmask_b32_e32 v16, v13, v0, vcc
; %bb.917:                              ;   in Loop: Header=BB4_862 Depth=2
	s_or_b64 exec, exec, s[88:89]
.LBB4_918:                              ;   in Loop: Header=BB4_862 Depth=2
	v_lshrrev_b32_e32 v0, 16, v17
	v_lshrrev_b32_e32 v1, 16, v13
	v_and_b32_e32 v13, 0x7fff, v0
	v_cmp_gt_u16_e64 s[20:21], s31, v13
	v_cmp_lt_u16_e64 s[22:23], s95, v13
	v_and_b32_e32 v13, 0x7fff, v1
	v_cmp_lt_u16_e64 s[24:25], s95, v13
	s_and_b64 s[78:79], s[24:25], s[20:21]
	s_mov_b64 s[88:89], -1
	s_xor_b64 s[78:79], s[78:79], -1
	s_and_b64 vcc, exec, s[76:77]
                                        ; implicit-def: $vgpr13
	s_cbranch_vccz .LBB4_922
; %bb.919:                              ;   in Loop: Header=BB4_862 Depth=2
	v_mov_b32_e32 v13, v0
	s_and_saveexec_b64 s[88:89], s[78:79]
; %bb.920:                              ;   in Loop: Header=BB4_862 Depth=2
	v_cmp_gt_f16_e32 vcc, v1, v0
	v_cndmask_b32_e32 v13, v0, v1, vcc
	s_and_b64 vcc, s[24:25], s[22:23]
	v_cndmask_b32_e32 v13, v13, v62, vcc
	s_or_b64 vcc, s[24:25], s[20:21]
	v_cndmask_b32_e32 v13, v1, v13, vcc
; %bb.921:                              ;   in Loop: Header=BB4_862 Depth=2
	s_or_b64 exec, exec, s[88:89]
	s_mov_b64 s[88:89], 0
.LBB4_922:                              ;   in Loop: Header=BB4_862 Depth=2
	s_andn2_b64 vcc, exec, s[88:89]
	s_cbranch_vccnz .LBB4_861
; %bb.923:                              ;   in Loop: Header=BB4_862 Depth=2
	s_and_saveexec_b64 s[88:89], s[78:79]
	s_cbranch_execz .LBB4_860
; %bb.924:                              ;   in Loop: Header=BB4_862 Depth=2
	v_cmp_gt_f16_e32 vcc, v1, v0
	v_cndmask_b32_e32 v0, v1, v0, vcc
	s_and_b64 vcc, s[24:25], s[22:23]
	v_cndmask_b32_e32 v0, v0, v62, vcc
	s_or_b64 vcc, s[24:25], s[20:21]
	v_cndmask_b32_e32 v0, v1, v0, vcc
	s_branch .LBB4_860
.LBB4_925:                              ;   in Loop: Header=BB4_589 Depth=1
	s_or_b64 exec, exec, s[74:75]
	v_mov_b32_e32 v20, v26
.LBB4_926:                              ;   in Loop: Header=BB4_589 Depth=1
	s_or_b64 exec, exec, s[72:73]
	v_and_b32_e32 v0, 14, v28
	v_cmp_lt_i32_e32 vcc, 0, v31
	v_sub_u32_e32 v1, v29, v0
	v_cndmask_b32_e64 v28, v29, v0, s[18:19]
	v_cndmask_b32_e32 v0, 0, v2, vcc
	v_cndmask_b32_e64 v1, 0, v1, s[18:19]
	v_sub_u32_e32 v0, v0, v31
	v_cmp_ne_u32_e32 vcc, 0, v28
	v_add3_u32 v3, v3, v24, v1
	v_lshl_add_u32 v16, v0, 6, v25
	s_and_b64 s[18:19], vcc, exec
.LBB4_927:                              ;   in Loop: Header=BB4_589 Depth=1
	s_or_b64 exec, exec, s[62:63]
	s_and_saveexec_b64 s[62:63], s[18:19]
	s_cbranch_execz .LBB4_1040
.LBB4_928:                              ;   in Loop: Header=BB4_589 Depth=1
	v_ashrrev_i32_e32 v0, 31, v16
	v_ashrrev_i32_e32 v1, 31, v28
	v_lshrrev_b32_e32 v0, 26, v0
	v_lshrrev_b32_e32 v1, 22, v1
	v_add_u32_e32 v0, v16, v0
	v_add_u32_e32 v1, v28, v1
	v_ashrrev_i32_e32 v17, 6, v0
	v_ashrrev_i32_e32 v19, 10, v1
	v_sub_u32_e32 v18, v19, v17
	v_cmp_lt_i32_e32 vcc, 0, v18
	s_and_saveexec_b64 s[72:73], vcc
	s_cbranch_execz .LBB4_1028
; %bb.929:                              ;   in Loop: Header=BB4_589 Depth=1
	v_and_b32_e32 v0, 0x7fffffc0, v0
	v_sub_u32_e32 v0, v16, v0
	v_lshlrev_b32_e32 v0, 1, v0
	v_lshlrev_b32_e32 v1, 10, v17
	buffer_store_dword v19, off, s[0:3], s33 offset:60 ; 4-byte Folded Spill
	s_nop 0
	buffer_store_dword v20, off, s[0:3], s33 offset:64 ; 4-byte Folded Spill
	v_add3_u32 v14, v0, v3, v1
	s_trap 2
	ds_read_b64 v[0:1], v0
	v_ashrrev_i32_e32 v15, 31, v14
	v_add_co_u32_e32 v10, vcc, v14, v40
	v_addc_co_u32_e32 v11, vcc, v15, v41, vcc
	s_waitcnt lgkmcnt(0)
	v_add_co_u32_e32 v12, vcc, v0, v14
	v_addc_co_u32_e32 v13, vcc, v1, v15, vcc
	v_add_co_u32_e32 v0, vcc, 0x380, v42
	v_addc_co_u32_e32 v1, vcc, 0, v43, vcc
	s_bitcmp1_b32 s92, 0
	v_add_co_u32_e32 v14, vcc, v0, v14
	s_cselect_b64 s[74:75], -1, 0
	v_addc_co_u32_e32 v15, vcc, v1, v15, vcc
	s_mov_b64 s[76:77], 0
	s_branch .LBB4_933
.LBB4_930:                              ;   in Loop: Header=BB4_933 Depth=2
	s_or_b64 exec, exec, s[22:23]
	v_mov_b32_e32 v21, v20
.LBB4_931:                              ;   in Loop: Header=BB4_933 Depth=2
	s_or_b64 exec, exec, s[78:79]
	v_mov_b32_e32 v0, v21
.LBB4_932:                              ;   in Loop: Header=BB4_933 Depth=2
	v_add_co_u32_e32 v20, vcc, 0xfffffc80, v14
	v_addc_co_u32_e32 v21, vcc, -1, v15, vcc
	flat_store_short v[20:21], v22 glc slc
	v_add_co_u32_e32 v20, vcc, 0xfffffd00, v14
	v_addc_co_u32_e32 v21, vcc, -1, v15, vcc
	flat_store_short v[20:21], v51 glc slc
	;; [unrolled: 3-line block ×6, first 2 shown]
	v_add_co_u32_e32 v20, vcc, 0xffffff80, v14
	v_addc_co_u32_e32 v21, vcc, -1, v15, vcc
	v_add_co_u32_e32 v10, vcc, v10, v58
	v_addc_co_u32_e32 v11, vcc, 0, v11, vcc
	v_add_co_u32_e32 v12, vcc, v12, v58
	v_addc_co_u32_e32 v13, vcc, 0, v13, vcc
	v_sub_u32_e32 v18, v18, v2
	v_cmp_gt_i32_e32 vcc, 1, v18
	flat_store_short v[20:21], v25 glc slc
	flat_store_short v[14:15], v0 glc slc
	s_or_b64 s[76:77], vcc, s[76:77]
	v_add_co_u32_e32 v14, vcc, v14, v58
	v_addc_co_u32_e32 v15, vcc, 0, v15, vcc
	s_andn2_b64 exec, exec, s[76:77]
	s_cbranch_execz .LBB4_1027
.LBB4_933:                              ;   Parent Loop BB4_589 Depth=1
                                        ; =>  This Inner Loop Header: Depth=2
	flat_load_ushort v26, v[10:11] glc slc
	flat_load_ushort v55, v[10:11] offset:128 glc slc
	s_waitcnt vmcnt(0)
	flat_load_ushort v46, v[10:11] offset:256 glc slc
	flat_load_ushort v47, v[10:11] offset:384 glc slc
	;; [unrolled: 1-line block ×6, first 2 shown]
	flat_load_ushort v51, v[12:13] glc slc
	flat_load_ushort v25, v[12:13] offset:128 glc slc
	flat_load_ushort v61, v[12:13] offset:256 glc slc
	;; [unrolled: 1-line block ×7, first 2 shown]
	s_mov_b64 s[22:23], -1
	s_and_b64 vcc, exec, s[74:75]
                                        ; implicit-def: $vgpr22
	s_waitcnt lgkmcnt(0)
	v_and_b32_e32 v0, 0x7fff, v26
	v_cmp_lt_u16_e64 s[18:19], s95, v0
	s_waitcnt vmcnt(0)
	v_and_b32_e32 v27, 0x7fff, v51
	v_cmp_gt_u16_e64 s[20:21], s31, v27
	s_and_b64 s[24:25], s[18:19], s[20:21]
	s_xor_b64 s[24:25], s[24:25], -1
	s_cbranch_vccz .LBB4_939
; %bb.934:                              ;   in Loop: Header=BB4_933 Depth=2
	v_mov_b32_e32 v22, v51
	s_and_saveexec_b64 s[78:79], s[24:25]
	s_cbranch_execz .LBB4_938
; %bb.935:                              ;   in Loop: Header=BB4_933 Depth=2
	s_or_b64 s[22:23], s[18:19], s[20:21]
	v_mov_b32_e32 v22, v26
	s_and_saveexec_b64 s[88:89], s[22:23]
; %bb.936:                              ;   in Loop: Header=BB4_933 Depth=2
	v_cmp_lt_u16_e32 vcc, s95, v27
	v_cmp_gt_f16_e64 s[22:23], v26, v51
	v_cndmask_b32_e64 v0, v51, v26, s[22:23]
	s_and_b64 vcc, s[18:19], vcc
	v_cndmask_b32_e32 v22, v0, v62, vcc
; %bb.937:                              ;   in Loop: Header=BB4_933 Depth=2
	s_or_b64 exec, exec, s[88:89]
.LBB4_938:                              ;   in Loop: Header=BB4_933 Depth=2
	s_or_b64 exec, exec, s[78:79]
	s_mov_b64 s[22:23], 0
.LBB4_939:                              ;   in Loop: Header=BB4_933 Depth=2
	s_andn2_b64 vcc, exec, s[22:23]
	s_cbranch_vccnz .LBB4_945
; %bb.940:                              ;   in Loop: Header=BB4_933 Depth=2
	s_and_saveexec_b64 s[22:23], s[24:25]
	s_cbranch_execz .LBB4_944
; %bb.941:                              ;   in Loop: Header=BB4_933 Depth=2
	s_or_b64 s[20:21], s[18:19], s[20:21]
	s_and_saveexec_b64 s[24:25], s[20:21]
; %bb.942:                              ;   in Loop: Header=BB4_933 Depth=2
	v_cmp_lt_u16_e32 vcc, s95, v27
	v_cmp_gt_f16_e64 s[20:21], v26, v51
	v_cndmask_b32_e64 v0, v26, v51, s[20:21]
	s_and_b64 vcc, s[18:19], vcc
	v_cndmask_b32_e32 v26, v0, v62, vcc
; %bb.943:                              ;   in Loop: Header=BB4_933 Depth=2
	s_or_b64 exec, exec, s[24:25]
	v_mov_b32_e32 v51, v26
.LBB4_944:                              ;   in Loop: Header=BB4_933 Depth=2
	s_or_b64 exec, exec, s[22:23]
	v_mov_b32_e32 v22, v51
.LBB4_945:                              ;   in Loop: Header=BB4_933 Depth=2
	v_and_b32_e32 v0, 0x7fff, v55
	v_cmp_lt_u16_e64 s[20:21], s95, v0
	v_and_b32_e32 v0, 0x7fff, v25
	v_cmp_gt_u16_e64 s[22:23], s31, v0
	s_and_b64 s[18:19], s[20:21], s[22:23]
	v_cndmask_b32_e64 v1, 0, 1, s[74:75]
	s_mov_b64 s[24:25], -1
	s_xor_b64 s[78:79], s[18:19], -1
	v_cmp_ne_u32_e64 s[18:19], 1, v1
	s_andn2_b64 vcc, exec, s[74:75]
                                        ; implicit-def: $vgpr51
	s_cbranch_vccnz .LBB4_951
; %bb.946:                              ;   in Loop: Header=BB4_933 Depth=2
	v_mov_b32_e32 v51, v25
	s_and_saveexec_b64 s[88:89], s[78:79]
	s_cbranch_execz .LBB4_950
; %bb.947:                              ;   in Loop: Header=BB4_933 Depth=2
	s_or_b64 s[24:25], s[20:21], s[22:23]
	v_mov_b32_e32 v51, v55
	s_and_saveexec_b64 s[90:91], s[24:25]
; %bb.948:                              ;   in Loop: Header=BB4_933 Depth=2
	v_cmp_lt_u16_e32 vcc, s95, v0
	v_cmp_gt_f16_e64 s[24:25], v55, v25
	v_cndmask_b32_e64 v1, v25, v55, s[24:25]
	s_and_b64 vcc, s[20:21], vcc
	v_cndmask_b32_e32 v51, v1, v62, vcc
; %bb.949:                              ;   in Loop: Header=BB4_933 Depth=2
	s_or_b64 exec, exec, s[90:91]
.LBB4_950:                              ;   in Loop: Header=BB4_933 Depth=2
	s_or_b64 exec, exec, s[88:89]
	s_mov_b64 s[24:25], 0
.LBB4_951:                              ;   in Loop: Header=BB4_933 Depth=2
	s_andn2_b64 vcc, exec, s[24:25]
	s_cbranch_vccnz .LBB4_957
; %bb.952:                              ;   in Loop: Header=BB4_933 Depth=2
	s_and_saveexec_b64 s[24:25], s[78:79]
	s_cbranch_execz .LBB4_956
; %bb.953:                              ;   in Loop: Header=BB4_933 Depth=2
	s_or_b64 s[22:23], s[20:21], s[22:23]
	s_and_saveexec_b64 s[78:79], s[22:23]
; %bb.954:                              ;   in Loop: Header=BB4_933 Depth=2
	v_cmp_lt_u16_e32 vcc, s95, v0
	v_cmp_gt_f16_e64 s[22:23], v55, v25
	v_cndmask_b32_e64 v0, v55, v25, s[22:23]
	s_and_b64 vcc, s[20:21], vcc
	v_cndmask_b32_e32 v55, v0, v62, vcc
; %bb.955:                              ;   in Loop: Header=BB4_933 Depth=2
	s_or_b64 exec, exec, s[78:79]
	v_mov_b32_e32 v25, v55
.LBB4_956:                              ;   in Loop: Header=BB4_933 Depth=2
	s_or_b64 exec, exec, s[24:25]
	v_mov_b32_e32 v51, v25
.LBB4_957:                              ;   in Loop: Header=BB4_933 Depth=2
	v_and_b32_e32 v0, 0x7fff, v46
	v_cmp_lt_u16_e64 s[20:21], s95, v0
	v_and_b32_e32 v0, 0x7fff, v61
	v_cmp_gt_u16_e64 s[22:23], s31, v0
	s_and_b64 s[78:79], s[20:21], s[22:23]
	s_mov_b64 s[24:25], -1
	s_and_b64 vcc, exec, s[18:19]
	s_xor_b64 s[78:79], s[78:79], -1
                                        ; implicit-def: $vgpr55
	s_cbranch_vccnz .LBB4_963
; %bb.958:                              ;   in Loop: Header=BB4_933 Depth=2
	v_mov_b32_e32 v55, v61
	s_and_saveexec_b64 s[88:89], s[78:79]
	s_cbranch_execz .LBB4_962
; %bb.959:                              ;   in Loop: Header=BB4_933 Depth=2
	s_or_b64 s[24:25], s[20:21], s[22:23]
	v_mov_b32_e32 v55, v46
	s_and_saveexec_b64 s[90:91], s[24:25]
; %bb.960:                              ;   in Loop: Header=BB4_933 Depth=2
	v_cmp_lt_u16_e32 vcc, s95, v0
	v_cmp_gt_f16_e64 s[24:25], v46, v61
	v_cndmask_b32_e64 v1, v61, v46, s[24:25]
	s_and_b64 vcc, s[20:21], vcc
	v_cndmask_b32_e32 v55, v1, v62, vcc
; %bb.961:                              ;   in Loop: Header=BB4_933 Depth=2
	s_or_b64 exec, exec, s[90:91]
.LBB4_962:                              ;   in Loop: Header=BB4_933 Depth=2
	s_or_b64 exec, exec, s[88:89]
	s_mov_b64 s[24:25], 0
.LBB4_963:                              ;   in Loop: Header=BB4_933 Depth=2
	s_andn2_b64 vcc, exec, s[24:25]
	s_cbranch_vccnz .LBB4_969
; %bb.964:                              ;   in Loop: Header=BB4_933 Depth=2
	s_and_saveexec_b64 s[24:25], s[78:79]
	s_cbranch_execz .LBB4_968
; %bb.965:                              ;   in Loop: Header=BB4_933 Depth=2
	s_or_b64 s[22:23], s[20:21], s[22:23]
	s_and_saveexec_b64 s[78:79], s[22:23]
; %bb.966:                              ;   in Loop: Header=BB4_933 Depth=2
	v_cmp_lt_u16_e32 vcc, s95, v0
	v_cmp_gt_f16_e64 s[22:23], v46, v61
	v_cndmask_b32_e64 v0, v46, v61, s[22:23]
	s_and_b64 vcc, s[20:21], vcc
	v_cndmask_b32_e32 v46, v0, v62, vcc
; %bb.967:                              ;   in Loop: Header=BB4_933 Depth=2
	s_or_b64 exec, exec, s[78:79]
	v_mov_b32_e32 v61, v46
.LBB4_968:                              ;   in Loop: Header=BB4_933 Depth=2
	s_or_b64 exec, exec, s[24:25]
	v_mov_b32_e32 v55, v61
.LBB4_969:                              ;   in Loop: Header=BB4_933 Depth=2
	v_and_b32_e32 v0, 0x7fff, v47
	v_cmp_lt_u16_e64 s[20:21], s95, v0
	v_and_b32_e32 v0, 0x7fff, v56
	v_cmp_gt_u16_e64 s[22:23], s31, v0
	s_and_b64 s[78:79], s[20:21], s[22:23]
	s_mov_b64 s[24:25], -1
	s_and_b64 vcc, exec, s[18:19]
	s_xor_b64 s[78:79], s[78:79], -1
                                        ; implicit-def: $vgpr46
	s_cbranch_vccnz .LBB4_975
; %bb.970:                              ;   in Loop: Header=BB4_933 Depth=2
	v_mov_b32_e32 v46, v56
	s_and_saveexec_b64 s[88:89], s[78:79]
	s_cbranch_execz .LBB4_974
; %bb.971:                              ;   in Loop: Header=BB4_933 Depth=2
	s_or_b64 s[24:25], s[20:21], s[22:23]
	v_mov_b32_e32 v46, v47
	s_and_saveexec_b64 s[90:91], s[24:25]
; %bb.972:                              ;   in Loop: Header=BB4_933 Depth=2
	v_cmp_lt_u16_e32 vcc, s95, v0
	v_cmp_gt_f16_e64 s[24:25], v47, v56
	v_cndmask_b32_e64 v1, v56, v47, s[24:25]
	s_and_b64 vcc, s[20:21], vcc
	v_cndmask_b32_e32 v46, v1, v62, vcc
; %bb.973:                              ;   in Loop: Header=BB4_933 Depth=2
	s_or_b64 exec, exec, s[90:91]
.LBB4_974:                              ;   in Loop: Header=BB4_933 Depth=2
	s_or_b64 exec, exec, s[88:89]
	s_mov_b64 s[24:25], 0
.LBB4_975:                              ;   in Loop: Header=BB4_933 Depth=2
	s_andn2_b64 vcc, exec, s[24:25]
	s_cbranch_vccnz .LBB4_981
; %bb.976:                              ;   in Loop: Header=BB4_933 Depth=2
	s_and_saveexec_b64 s[24:25], s[78:79]
	s_cbranch_execz .LBB4_980
; %bb.977:                              ;   in Loop: Header=BB4_933 Depth=2
	s_or_b64 s[22:23], s[20:21], s[22:23]
	s_and_saveexec_b64 s[78:79], s[22:23]
; %bb.978:                              ;   in Loop: Header=BB4_933 Depth=2
	v_cmp_lt_u16_e32 vcc, s95, v0
	v_cmp_gt_f16_e64 s[22:23], v47, v56
	v_cndmask_b32_e64 v0, v47, v56, s[22:23]
	s_and_b64 vcc, s[20:21], vcc
	v_cndmask_b32_e32 v47, v0, v62, vcc
; %bb.979:                              ;   in Loop: Header=BB4_933 Depth=2
	s_or_b64 exec, exec, s[78:79]
	v_mov_b32_e32 v56, v47
.LBB4_980:                              ;   in Loop: Header=BB4_933 Depth=2
	s_or_b64 exec, exec, s[24:25]
	v_mov_b32_e32 v46, v56
.LBB4_981:                              ;   in Loop: Header=BB4_933 Depth=2
	v_and_b32_e32 v0, 0x7fff, v44
	v_cmp_lt_u16_e64 s[20:21], s95, v0
	v_and_b32_e32 v0, 0x7fff, v45
	v_cmp_gt_u16_e64 s[22:23], s31, v0
	s_and_b64 s[78:79], s[20:21], s[22:23]
	s_mov_b64 s[24:25], -1
	s_and_b64 vcc, exec, s[18:19]
	s_xor_b64 s[78:79], s[78:79], -1
                                        ; implicit-def: $vgpr47
	s_cbranch_vccnz .LBB4_987
; %bb.982:                              ;   in Loop: Header=BB4_933 Depth=2
	v_mov_b32_e32 v47, v45
	s_and_saveexec_b64 s[88:89], s[78:79]
	s_cbranch_execz .LBB4_986
; %bb.983:                              ;   in Loop: Header=BB4_933 Depth=2
	s_or_b64 s[24:25], s[20:21], s[22:23]
	v_mov_b32_e32 v47, v44
	s_and_saveexec_b64 s[90:91], s[24:25]
; %bb.984:                              ;   in Loop: Header=BB4_933 Depth=2
	v_cmp_lt_u16_e32 vcc, s95, v0
	v_cmp_gt_f16_e64 s[24:25], v44, v45
	v_cndmask_b32_e64 v1, v45, v44, s[24:25]
	s_and_b64 vcc, s[20:21], vcc
	v_cndmask_b32_e32 v47, v1, v62, vcc
; %bb.985:                              ;   in Loop: Header=BB4_933 Depth=2
	s_or_b64 exec, exec, s[90:91]
.LBB4_986:                              ;   in Loop: Header=BB4_933 Depth=2
	s_or_b64 exec, exec, s[88:89]
	s_mov_b64 s[24:25], 0
.LBB4_987:                              ;   in Loop: Header=BB4_933 Depth=2
	s_andn2_b64 vcc, exec, s[24:25]
	s_cbranch_vccnz .LBB4_993
; %bb.988:                              ;   in Loop: Header=BB4_933 Depth=2
	s_and_saveexec_b64 s[24:25], s[78:79]
	s_cbranch_execz .LBB4_992
; %bb.989:                              ;   in Loop: Header=BB4_933 Depth=2
	s_or_b64 s[22:23], s[20:21], s[22:23]
	s_and_saveexec_b64 s[78:79], s[22:23]
; %bb.990:                              ;   in Loop: Header=BB4_933 Depth=2
	v_cmp_lt_u16_e32 vcc, s95, v0
	v_cmp_gt_f16_e64 s[22:23], v44, v45
	v_cndmask_b32_e64 v0, v44, v45, s[22:23]
	s_and_b64 vcc, s[20:21], vcc
	v_cndmask_b32_e32 v44, v0, v62, vcc
; %bb.991:                              ;   in Loop: Header=BB4_933 Depth=2
	s_or_b64 exec, exec, s[78:79]
	v_mov_b32_e32 v45, v44
.LBB4_992:                              ;   in Loop: Header=BB4_933 Depth=2
	s_or_b64 exec, exec, s[24:25]
	v_mov_b32_e32 v47, v45
.LBB4_993:                              ;   in Loop: Header=BB4_933 Depth=2
	v_and_b32_e32 v0, 0x7fff, v29
	v_cmp_lt_u16_e64 s[20:21], s95, v0
	v_and_b32_e32 v0, 0x7fff, v31
	v_cmp_gt_u16_e64 s[22:23], s31, v0
	s_and_b64 s[78:79], s[20:21], s[22:23]
	s_mov_b64 s[24:25], -1
	s_and_b64 vcc, exec, s[18:19]
	s_xor_b64 s[78:79], s[78:79], -1
                                        ; implicit-def: $vgpr44
	s_cbranch_vccnz .LBB4_999
; %bb.994:                              ;   in Loop: Header=BB4_933 Depth=2
	v_mov_b32_e32 v44, v31
	s_and_saveexec_b64 s[88:89], s[78:79]
	s_cbranch_execz .LBB4_998
; %bb.995:                              ;   in Loop: Header=BB4_933 Depth=2
	s_or_b64 s[24:25], s[20:21], s[22:23]
	v_mov_b32_e32 v44, v29
	s_and_saveexec_b64 s[90:91], s[24:25]
; %bb.996:                              ;   in Loop: Header=BB4_933 Depth=2
	v_cmp_lt_u16_e32 vcc, s95, v0
	v_cmp_gt_f16_e64 s[24:25], v29, v31
	v_cndmask_b32_e64 v1, v31, v29, s[24:25]
	s_and_b64 vcc, s[20:21], vcc
	v_cndmask_b32_e32 v44, v1, v62, vcc
; %bb.997:                              ;   in Loop: Header=BB4_933 Depth=2
	s_or_b64 exec, exec, s[90:91]
.LBB4_998:                              ;   in Loop: Header=BB4_933 Depth=2
	s_or_b64 exec, exec, s[88:89]
	s_mov_b64 s[24:25], 0
.LBB4_999:                              ;   in Loop: Header=BB4_933 Depth=2
	s_andn2_b64 vcc, exec, s[24:25]
	s_cbranch_vccnz .LBB4_1005
; %bb.1000:                             ;   in Loop: Header=BB4_933 Depth=2
	s_and_saveexec_b64 s[24:25], s[78:79]
	s_cbranch_execz .LBB4_1004
; %bb.1001:                             ;   in Loop: Header=BB4_933 Depth=2
	s_or_b64 s[22:23], s[20:21], s[22:23]
	s_and_saveexec_b64 s[78:79], s[22:23]
; %bb.1002:                             ;   in Loop: Header=BB4_933 Depth=2
	v_cmp_lt_u16_e32 vcc, s95, v0
	v_cmp_gt_f16_e64 s[22:23], v29, v31
	v_cndmask_b32_e64 v0, v29, v31, s[22:23]
	s_and_b64 vcc, s[20:21], vcc
	v_cndmask_b32_e32 v29, v0, v62, vcc
; %bb.1003:                             ;   in Loop: Header=BB4_933 Depth=2
	s_or_b64 exec, exec, s[78:79]
	v_mov_b32_e32 v31, v29
.LBB4_1004:                             ;   in Loop: Header=BB4_933 Depth=2
	s_or_b64 exec, exec, s[24:25]
	v_mov_b32_e32 v44, v31
.LBB4_1005:                             ;   in Loop: Header=BB4_933 Depth=2
	v_and_b32_e32 v0, 0x7fff, v23
	v_cmp_lt_u16_e64 s[20:21], s95, v0
	v_and_b32_e32 v0, 0x7fff, v24
	v_cmp_gt_u16_e64 s[22:23], s31, v0
	s_and_b64 s[78:79], s[20:21], s[22:23]
	s_mov_b64 s[24:25], -1
	s_and_b64 vcc, exec, s[18:19]
	s_xor_b64 s[78:79], s[78:79], -1
                                        ; implicit-def: $vgpr25
	s_cbranch_vccnz .LBB4_1011
; %bb.1006:                             ;   in Loop: Header=BB4_933 Depth=2
	v_mov_b32_e32 v25, v24
	s_and_saveexec_b64 s[88:89], s[78:79]
	s_cbranch_execz .LBB4_1010
; %bb.1007:                             ;   in Loop: Header=BB4_933 Depth=2
	s_or_b64 s[24:25], s[20:21], s[22:23]
	v_mov_b32_e32 v25, v23
	s_and_saveexec_b64 s[90:91], s[24:25]
; %bb.1008:                             ;   in Loop: Header=BB4_933 Depth=2
	v_cmp_lt_u16_e32 vcc, s95, v0
	v_cmp_gt_f16_e64 s[24:25], v23, v24
	v_cndmask_b32_e64 v1, v24, v23, s[24:25]
	s_and_b64 vcc, s[20:21], vcc
	v_cndmask_b32_e32 v25, v1, v62, vcc
; %bb.1009:                             ;   in Loop: Header=BB4_933 Depth=2
	s_or_b64 exec, exec, s[90:91]
.LBB4_1010:                             ;   in Loop: Header=BB4_933 Depth=2
	s_or_b64 exec, exec, s[88:89]
	s_mov_b64 s[24:25], 0
.LBB4_1011:                             ;   in Loop: Header=BB4_933 Depth=2
	s_andn2_b64 vcc, exec, s[24:25]
	s_cbranch_vccnz .LBB4_1017
; %bb.1012:                             ;   in Loop: Header=BB4_933 Depth=2
	s_and_saveexec_b64 s[24:25], s[78:79]
	s_cbranch_execz .LBB4_1016
; %bb.1013:                             ;   in Loop: Header=BB4_933 Depth=2
	s_or_b64 s[22:23], s[20:21], s[22:23]
	s_and_saveexec_b64 s[78:79], s[22:23]
; %bb.1014:                             ;   in Loop: Header=BB4_933 Depth=2
	v_cmp_lt_u16_e32 vcc, s95, v0
	v_cmp_gt_f16_e64 s[22:23], v23, v24
	v_cndmask_b32_e64 v0, v23, v24, s[22:23]
	s_and_b64 vcc, s[20:21], vcc
	v_cndmask_b32_e32 v23, v0, v62, vcc
; %bb.1015:                             ;   in Loop: Header=BB4_933 Depth=2
	s_or_b64 exec, exec, s[78:79]
	v_mov_b32_e32 v24, v23
.LBB4_1016:                             ;   in Loop: Header=BB4_933 Depth=2
	s_or_b64 exec, exec, s[24:25]
	v_mov_b32_e32 v25, v24
.LBB4_1017:                             ;   in Loop: Header=BB4_933 Depth=2
	v_and_b32_e32 v0, 0x7fff, v20
	v_and_b32_e32 v1, 0x7fff, v21
	v_cmp_lt_u16_e64 s[20:21], s95, v0
	v_cmp_gt_u16_e64 s[22:23], s31, v1
	s_and_b64 s[24:25], s[20:21], s[22:23]
	s_mov_b64 s[78:79], -1
	s_and_b64 vcc, exec, s[18:19]
	s_xor_b64 s[24:25], s[24:25], -1
                                        ; implicit-def: $vgpr0
	s_cbranch_vccnz .LBB4_1023
; %bb.1018:                             ;   in Loop: Header=BB4_933 Depth=2
	v_mov_b32_e32 v0, v21
	s_and_saveexec_b64 s[78:79], s[24:25]
	s_cbranch_execz .LBB4_1022
; %bb.1019:                             ;   in Loop: Header=BB4_933 Depth=2
	s_or_b64 s[18:19], s[20:21], s[22:23]
	v_mov_b32_e32 v0, v20
	s_and_saveexec_b64 s[88:89], s[18:19]
; %bb.1020:                             ;   in Loop: Header=BB4_933 Depth=2
	v_cmp_lt_u16_e32 vcc, s95, v1
	v_cmp_gt_f16_e64 s[18:19], v20, v21
	v_cndmask_b32_e64 v0, v21, v20, s[18:19]
	s_and_b64 vcc, s[20:21], vcc
	v_cndmask_b32_e32 v0, v0, v62, vcc
; %bb.1021:                             ;   in Loop: Header=BB4_933 Depth=2
	s_or_b64 exec, exec, s[88:89]
.LBB4_1022:                             ;   in Loop: Header=BB4_933 Depth=2
	s_or_b64 exec, exec, s[78:79]
	s_mov_b64 s[78:79], 0
.LBB4_1023:                             ;   in Loop: Header=BB4_933 Depth=2
	s_andn2_b64 vcc, exec, s[78:79]
	s_cbranch_vccnz .LBB4_932
; %bb.1024:                             ;   in Loop: Header=BB4_933 Depth=2
	s_and_saveexec_b64 s[78:79], s[24:25]
	s_cbranch_execz .LBB4_931
; %bb.1025:                             ;   in Loop: Header=BB4_933 Depth=2
	s_or_b64 s[18:19], s[20:21], s[22:23]
	s_and_saveexec_b64 s[22:23], s[18:19]
	s_cbranch_execz .LBB4_930
; %bb.1026:                             ;   in Loop: Header=BB4_933 Depth=2
	v_cmp_lt_u16_e32 vcc, s95, v1
	v_cmp_gt_f16_e64 s[18:19], v20, v21
	v_cndmask_b32_e64 v0, v20, v21, s[18:19]
	s_and_b64 vcc, s[20:21], vcc
	v_cndmask_b32_e32 v20, v0, v62, vcc
	s_branch .LBB4_930
.LBB4_1027:                             ;   in Loop: Header=BB4_589 Depth=1
	s_or_b64 exec, exec, s[76:77]
	buffer_load_dword v56, off, s[0:3], s33 offset:80 ; 4-byte Folded Reload
	buffer_load_dword v45, off, s[0:3], s33 offset:68 ; 4-byte Folded Reload
	;; [unrolled: 1-line block ×6, first 2 shown]
	s_waitcnt vmcnt(0)
	v_mov_b32_e32 v20, v1
.LBB4_1028:                             ;   in Loop: Header=BB4_589 Depth=1
	s_or_b64 exec, exec, s[72:73]
	v_lshlrev_b32_e32 v0, 10, v19
	v_cmp_ne_u32_e32 vcc, v28, v0
	s_and_b64 exec, exec, vcc
	s_cbranch_execz .LBB4_1040
; %bb.1029:                             ;   in Loop: Header=BB4_589 Depth=1
	v_lshlrev_b32_e32 v1, 6, v17
	v_sub_u32_e32 v1, v16, v1
	v_lshlrev_b32_e32 v10, 6, v18
	v_sub_u32_e32 v1, v1, v10
	v_ashrrev_i32_e32 v10, 31, v1
	v_lshrrev_b32_e32 v10, 26, v10
	v_add_u32_e32 v10, v1, v10
	v_and_b32_e32 v11, 0x7fffffc0, v10
	v_sub_u32_e32 v1, v1, v11
	v_lshlrev_b32_e32 v10, 1, v10
	v_and_b32_e32 v10, 0xffffff80, v10
	v_lshlrev_b32_e32 v1, 1, v1
	v_add3_u32 v0, v10, v1, v0
	v_sub_u32_e32 v16, v28, v0
	v_cmp_lt_i32_e32 vcc, 1, v16
	s_and_b64 exec, exec, vcc
	s_cbranch_execz .LBB4_1040
; %bb.1030:                             ;   in Loop: Header=BB4_589 Depth=1
	v_add_u32_e32 v3, v0, v3
	s_trap 2
	ds_read_b64 v[0:1], v0
	v_ashrrev_i32_e32 v15, 31, v3
	v_add_co_u32_e32 v10, vcc, v3, v40
	v_addc_co_u32_e32 v11, vcc, v15, v41, vcc
	s_waitcnt lgkmcnt(0)
	v_add_co_u32_e32 v12, vcc, v0, v3
	v_addc_co_u32_e32 v13, vcc, v1, v15, vcc
	v_add_co_u32_e32 v14, vcc, v3, v42
	s_bitcmp1_b32 s92, 0
	v_addc_co_u32_e32 v15, vcc, v15, v43, vcc
	s_mov_b64 s[24:25], 0
	s_cselect_b64 s[72:73], -1, 0
	s_branch .LBB4_1033
.LBB4_1031:                             ;   in Loop: Header=BB4_1033 Depth=2
	s_or_b64 exec, exec, s[76:77]
	v_mov_b32_e32 v3, v0
.LBB4_1032:                             ;   in Loop: Header=BB4_1033 Depth=2
	v_add_co_u32_e32 v10, vcc, v10, v59
	v_addc_co_u32_e32 v11, vcc, 0, v11, vcc
	v_add_co_u32_e32 v12, vcc, v12, v59
	v_addc_co_u32_e32 v13, vcc, 0, v13, vcc
	v_sub_u32_e32 v16, v16, v59
	v_cmp_gt_i32_e32 vcc, 2, v16
	flat_store_short v[14:15], v3 glc slc
	s_or_b64 s[24:25], vcc, s[24:25]
	v_add_co_u32_e32 v14, vcc, v14, v59
	v_addc_co_u32_e32 v15, vcc, 0, v15, vcc
	s_andn2_b64 exec, exec, s[24:25]
	s_cbranch_execz .LBB4_1040
.LBB4_1033:                             ;   Parent Loop BB4_589 Depth=1
                                        ; =>  This Inner Loop Header: Depth=2
	flat_load_ushort v0, v[12:13] glc slc
	flat_load_ushort v1, v[10:11] glc slc
	s_mov_b64 s[76:77], -1
	s_and_b64 vcc, exec, s[72:73]
                                        ; implicit-def: $vgpr3
	s_waitcnt vmcnt(0) lgkmcnt(0)
	v_and_b32_e32 v17, 0x7fff, v0
	v_and_b32_e32 v18, 0x7fff, v1
	v_cmp_gt_u16_e64 s[18:19], s31, v17
	v_cmp_lt_u16_e64 s[20:21], s95, v18
	s_and_b64 s[74:75], s[20:21], s[18:19]
	v_cmp_lt_u16_e64 s[22:23], s95, v17
	s_xor_b64 s[74:75], s[74:75], -1
	s_cbranch_vccz .LBB4_1037
; %bb.1034:                             ;   in Loop: Header=BB4_1033 Depth=2
	v_mov_b32_e32 v3, v0
	s_and_saveexec_b64 s[76:77], s[74:75]
; %bb.1035:                             ;   in Loop: Header=BB4_1033 Depth=2
	v_cmp_gt_f16_e32 vcc, v1, v0
	v_cndmask_b32_e32 v3, v0, v1, vcc
	s_and_b64 vcc, s[20:21], s[22:23]
	v_cndmask_b32_e32 v3, v3, v62, vcc
	s_or_b64 vcc, s[20:21], s[18:19]
	v_cndmask_b32_e32 v3, v1, v3, vcc
; %bb.1036:                             ;   in Loop: Header=BB4_1033 Depth=2
	s_or_b64 exec, exec, s[76:77]
	s_mov_b64 s[76:77], 0
.LBB4_1037:                             ;   in Loop: Header=BB4_1033 Depth=2
	s_andn2_b64 vcc, exec, s[76:77]
	s_cbranch_vccnz .LBB4_1032
; %bb.1038:                             ;   in Loop: Header=BB4_1033 Depth=2
	s_and_saveexec_b64 s[76:77], s[74:75]
	s_cbranch_execz .LBB4_1031
; %bb.1039:                             ;   in Loop: Header=BB4_1033 Depth=2
	v_cmp_gt_f16_e32 vcc, v1, v0
	v_cndmask_b32_e32 v0, v1, v0, vcc
	s_and_b64 vcc, s[20:21], s[22:23]
	v_cndmask_b32_e32 v0, v0, v62, vcc
	s_or_b64 vcc, s[20:21], s[18:19]
	v_cndmask_b32_e32 v0, v1, v0, vcc
	s_branch .LBB4_1031
.LBB4_1040:                             ;   in Loop: Header=BB4_589 Depth=1
	s_or_b64 exec, exec, s[62:63]
	v_cmp_ne_u32_e64 s[18:19], 0, v50
	s_and_saveexec_b64 s[20:21], s[10:11]
	s_cbranch_execz .LBB4_1059
.LBB4_1041:                             ;   in Loop: Header=BB4_589 Depth=1
	s_and_saveexec_b64 s[22:23], s[44:45]
	s_xor_b64 s[22:23], exec, s[22:23]
	s_cbranch_execz .LBB4_1056
; %bb.1042:                             ;   in Loop: Header=BB4_589 Depth=1
	s_and_saveexec_b64 s[24:25], s[12:13]
	s_cbranch_execz .LBB4_1055
; %bb.1043:                             ;   in Loop: Header=BB4_589 Depth=1
	s_mov_b64 s[72:73], exec
	v_mbcnt_lo_u32_b32 v0, s72, 0
	v_mbcnt_hi_u32_b32 v0, s73, v0
	v_cmp_eq_u32_e32 vcc, 0, v0
	s_waitcnt vmcnt(0) lgkmcnt(0)
	buffer_wbinvl1_vol
	s_and_saveexec_b64 s[62:63], vcc
	s_cbranch_execz .LBB4_1045
; %bb.1044:                             ;   in Loop: Header=BB4_589 Depth=1
	s_bcnt1_i32_b64 s72, s[72:73]
	v_mov_b32_e32 v19, s72
	ds_add_u64 v0, v[19:20]
	s_trap 2
.LBB4_1045:                             ;   in Loop: Header=BB4_589 Depth=1
	s_or_b64 exec, exec, s[62:63]
	s_trap 2
	ds_read_b64 v[0:1], v0
	s_waitcnt lgkmcnt(0)
	v_add_co_u32_e32 v36, vcc, v36, v2
	v_addc_co_u32_e32 v37, vcc, 0, v37, vcc
	v_cmp_lt_u64_e32 vcc, v[0:1], v[36:37]
	s_and_saveexec_b64 s[62:63], vcc
	s_cbranch_execz .LBB4_1054
; %bb.1046:                             ;   in Loop: Header=BB4_589 Depth=1
	s_mov_b32 s92, 0
	s_mov_b64 s[72:73], 0
                                        ; implicit-def: $sgpr74_sgpr75
                                        ; implicit-def: $sgpr76_sgpr77
	s_branch .LBB4_1048
.LBB4_1047:                             ;   in Loop: Header=BB4_1048 Depth=2
	s_or_b64 exec, exec, s[88:89]
	s_and_b64 s[78:79], exec, s[90:91]
	s_or_b64 s[72:73], s[78:79], s[72:73]
	s_andn2_b64 s[74:75], s[74:75], exec
	s_and_b64 s[78:79], s[76:77], exec
	s_or_b64 s[74:75], s[74:75], s[78:79]
	s_andn2_b64 exec, exec, s[72:73]
	s_cbranch_execz .LBB4_1052
.LBB4_1048:                             ;   Parent Loop BB4_589 Depth=1
                                        ; =>  This Inner Loop Header: Depth=2
	s_add_i32 s92, s92, 1
	s_cmpk_lg_i32 s92, 0x2710
	s_cselect_b64 s[78:79], -1, 0
	s_and_b64 vcc, exec, s[78:79]
	s_cbranch_vccz .LBB4_1050
; %bb.1049:                             ;   in Loop: Header=BB4_1048 Depth=2
	s_mov_b64 s[90:91], -1
	s_or_b64 s[76:77], s[76:77], exec
	s_and_saveexec_b64 s[88:89], s[78:79]
	s_cbranch_execz .LBB4_1047
	s_branch .LBB4_1051
.LBB4_1050:                             ;   in Loop: Header=BB4_1048 Depth=2
	s_trap 2
	ds_read_b64 v[0:1], v0
	s_andn2_b64 s[78:79], s[78:79], exec
	s_mov_b32 s92, 0
	s_waitcnt lgkmcnt(0)
	flat_load_dword v0, v[0:1] glc
	s_waitcnt vmcnt(0) lgkmcnt(0)
	buffer_wbinvl1_vol
	v_cmp_eq_u32_e32 vcc, 0, v0
	s_and_b64 s[88:89], vcc, exec
	s_or_b64 s[78:79], s[78:79], s[88:89]
	s_mov_b64 s[90:91], -1
	s_or_b64 s[76:77], s[76:77], exec
	s_and_saveexec_b64 s[88:89], s[78:79]
	s_cbranch_execz .LBB4_1047
.LBB4_1051:                             ;   in Loop: Header=BB4_1048 Depth=2
	s_sleep 1
	s_trap 2
	ds_read_b64 v[0:1], v0
	s_waitcnt lgkmcnt(0)
	s_andn2_b64 s[76:77], s[76:77], exec
	v_cmp_ge_u64_e32 vcc, v[0:1], v[36:37]
	s_orn2_b64 s[90:91], vcc, exec
	s_branch .LBB4_1047
.LBB4_1052:                             ;   in Loop: Header=BB4_589 Depth=1
	s_or_b64 exec, exec, s[72:73]
	s_and_saveexec_b64 s[72:73], s[74:75]
	s_xor_b64 s[72:73], exec, s[72:73]
	s_cbranch_execz .LBB4_1054
; %bb.1053:                             ;   in Loop: Header=BB4_589 Depth=1
	v_mov_b32_e32 v0, 1
	ds_write_b32 v0, v0
	s_trap 2
.LBB4_1054:                             ;   in Loop: Header=BB4_589 Depth=1
	s_or_b64 exec, exec, s[62:63]
	;;#ASMSTART
	s_wakeup
	;;#ASMEND
.LBB4_1055:                             ;   in Loop: Header=BB4_589 Depth=1
	s_or_b64 exec, exec, s[24:25]
.LBB4_1056:                             ;   in Loop: Header=BB4_589 Depth=1
	s_andn2_saveexec_b64 s[22:23], s[22:23]
	s_cbranch_execz .LBB4_1058
; %bb.1057:                             ;   in Loop: Header=BB4_589 Depth=1
	s_waitcnt vmcnt(0) lgkmcnt(0)
	buffer_wbinvl1_vol
	s_barrier
.LBB4_1058:                             ;   in Loop: Header=BB4_589 Depth=1
	s_or_b64 exec, exec, s[22:23]
.LBB4_1059:                             ;   in Loop: Header=BB4_589 Depth=1
	s_or_b64 exec, exec, s[20:21]
	v_and_b32_e32 v0, 16, v60
	v_cmp_ne_u32_e32 vcc, 0, v0
	s_and_b64 s[20:21], vcc, s[18:19]
	s_and_saveexec_b64 s[18:19], s[20:21]
	s_cbranch_execz .LBB4_1061
; %bb.1060:                             ;   in Loop: Header=BB4_589 Depth=1
	s_waitcnt vmcnt(0) lgkmcnt(0)
	buffer_wbinvl1_vol
.LBB4_1061:                             ;   in Loop: Header=BB4_589 Depth=1
	s_or_b64 exec, exec, s[18:19]
	v_and_b32_e32 v0, 32, v60
	v_cmp_ne_u32_e32 vcc, 0, v0
	s_and_saveexec_b64 s[18:19], vcc
	s_cbranch_execz .LBB4_1063
; %bb.1062:                             ;   in Loop: Header=BB4_589 Depth=1
	v_add_co_u32_e32 v8, vcc, 1, v8
	v_addc_co_u32_e32 v9, vcc, 0, v9, vcc
	flat_store_dwordx2 v[32:33], v[8:9]
.LBB4_1063:                             ;   in Loop: Header=BB4_589 Depth=1
	s_or_b64 exec, exec, s[18:19]
	v_mov_b32_e32 v3, v30
.LBB4_1064:                             ;   in Loop: Header=BB4_589 Depth=1
	s_or_b64 exec, exec, s[60:61]
	s_and_saveexec_b64 s[20:21], s[58:59]
	s_cbranch_execz .LBB4_588
; %bb.1065:                             ;   in Loop: Header=BB4_589 Depth=1
	v_and_b32_e32 v0, 4, v60
	v_cmp_ne_u32_e32 vcc, 0, v0
	s_and_saveexec_b64 s[22:23], vcc
	s_cbranch_execz .LBB4_1087
; %bb.1066:                             ;   in Loop: Header=BB4_589 Depth=1
	s_waitcnt lgkmcnt(0)
	v_add_co_u32_e32 v10, vcc, 1, v8
	v_addc_co_u32_e32 v11, vcc, 0, v9, vcc
	s_waitcnt vmcnt(0)
	v_cmp_lt_u64_e32 vcc, v[38:39], v[10:11]
	s_and_saveexec_b64 s[24:25], vcc
	s_cbranch_execz .LBB4_1078
; %bb.1067:                             ;   in Loop: Header=BB4_589 Depth=1
	v_and_b32_e32 v0, 64, v60
	s_mov_b32 s92, 0
	v_cmp_eq_u32_e32 vcc, 0, v0
	s_mov_b64 s[58:59], 0
                                        ; implicit-def: $sgpr60_sgpr61
                                        ; implicit-def: $sgpr62_sgpr63
                                        ; implicit-def: $sgpr72_sgpr73
	s_branch .LBB4_1071
.LBB4_1068:                             ;   in Loop: Header=BB4_1071 Depth=2
	s_waitcnt vmcnt(0) lgkmcnt(0)
	v_cmp_ge_u64_e64 s[18:19], v[38:39], v[10:11]
	s_or_b64 s[78:79], s[78:79], exec
	s_orn2_b64 s[76:77], s[18:19], exec
.LBB4_1069:                             ;   in Loop: Header=BB4_1071 Depth=2
	s_or_b64 exec, exec, s[90:91]
	s_andn2_b64 s[18:19], s[72:73], exec
	s_and_b64 s[72:73], s[78:79], exec
	s_or_b64 s[72:73], s[18:19], s[72:73]
	s_andn2_b64 s[18:19], s[62:63], exec
	s_and_b64 s[62:63], s[76:77], exec
	s_or_b64 s[62:63], s[18:19], s[62:63]
.LBB4_1070:                             ;   in Loop: Header=BB4_1071 Depth=2
	s_or_b64 exec, exec, s[74:75]
	s_and_b64 s[18:19], exec, s[62:63]
	s_or_b64 s[58:59], s[18:19], s[58:59]
	s_andn2_b64 s[18:19], s[60:61], exec
	s_and_b64 s[60:61], s[72:73], exec
	s_or_b64 s[60:61], s[18:19], s[60:61]
	s_andn2_b64 exec, exec, s[58:59]
	s_cbranch_execz .LBB4_1075
.LBB4_1071:                             ;   Parent Loop BB4_589 Depth=1
                                        ; =>  This Inner Loop Header: Depth=2
	s_sleep 1
	s_waitcnt vmcnt(0) lgkmcnt(0)
	flat_load_dwordx2 v[38:39], v[32:33] glc
	s_or_b64 s[72:73], s[72:73], exec
	s_or_b64 s[62:63], s[62:63], exec
                                        ; implicit-def: $vgpr0
	s_and_saveexec_b64 s[74:75], vcc
	s_cbranch_execz .LBB4_1070
; %bb.1072:                             ;   in Loop: Header=BB4_1071 Depth=2
	s_cmpk_lt_i32 s92, 0x270f
	s_cselect_b64 s[88:89], -1, 0
	s_cmpk_gt_i32 s92, 0x270e
	s_mov_b64 s[76:77], -1
	s_cbranch_scc0 .LBB4_1074
; %bb.1073:                             ;   in Loop: Header=BB4_1071 Depth=2
	s_trap 2
	ds_read_b64 v[0:1], v0
	s_andn2_b64 s[88:89], s[88:89], exec
	s_mov_b32 s92, 0
	s_mov_b64 s[78:79], 0
	s_waitcnt vmcnt(0) lgkmcnt(0)
	flat_load_dword v0, v[0:1] glc
	s_waitcnt vmcnt(0) lgkmcnt(0)
	buffer_wbinvl1_vol
	v_cmp_eq_u32_e64 s[18:19], 0, v0
	s_and_b64 s[18:19], s[18:19], exec
	s_or_b64 s[88:89], s[88:89], s[18:19]
	s_and_saveexec_b64 s[90:91], s[88:89]
	s_cbranch_execz .LBB4_1069
	s_branch .LBB4_1068
.LBB4_1074:                             ;   in Loop: Header=BB4_1071 Depth=2
	s_add_i32 s92, s92, 1
	s_mov_b64 s[78:79], -1
                                        ; implicit-def: $vgpr0
	s_and_saveexec_b64 s[90:91], s[88:89]
	s_cbranch_execz .LBB4_1069
	s_branch .LBB4_1068
.LBB4_1075:                             ;   in Loop: Header=BB4_589 Depth=1
	s_or_b64 exec, exec, s[58:59]
	s_xor_b64 s[18:19], s[60:61], -1
	s_and_saveexec_b64 s[58:59], s[18:19]
	s_xor_b64 s[18:19], exec, s[58:59]
	s_cbranch_execz .LBB4_1077
; %bb.1076:                             ;   in Loop: Header=BB4_589 Depth=1
	v_or_b32_e32 v60, 64, v60
	s_waitcnt lgkmcnt(0)
	ds_write_b32 v0, v0
	s_trap 2
.LBB4_1077:                             ;   in Loop: Header=BB4_589 Depth=1
	s_or_b64 exec, exec, s[18:19]
.LBB4_1078:                             ;   in Loop: Header=BB4_589 Depth=1
	s_or_b64 exec, exec, s[24:25]
	v_and_b32_e32 v0, 0x100, v60
	v_cmp_ne_u32_e32 vcc, 0, v0
	v_and_b32_e32 v0, 7, v8
	s_mov_b64 s[18:19], -1
	;;#ASMSTART
	s_wakeup
	;;#ASMEND
                                        ; implicit-def: $vgpr8_vgpr9
	s_and_saveexec_b64 s[24:25], vcc
	s_cbranch_execz .LBB4_1082
; %bb.1079:                             ;   in Loop: Header=BB4_589 Depth=1
	v_mad_u64_u32 v[12:13], s[18:19], v0, 24, v[6:7]
                                        ; implicit-def: $vgpr8_vgpr9
	flat_load_dword v1, v[12:13]
	s_waitcnt vmcnt(0) lgkmcnt(0)
	v_cmp_ne_u32_e32 vcc, 1, v1
	v_cmp_eq_u32_e64 s[18:19], 1, v1
	s_and_saveexec_b64 s[58:59], s[18:19]
	s_cbranch_execz .LBB4_1081
; %bb.1080:                             ;   in Loop: Header=BB4_589 Depth=1
	flat_load_dword v8, v[12:13] offset:4 glc
	s_waitcnt vmcnt(0) lgkmcnt(0)
	v_ashrrev_i32_e32 v9, 31, v8
	v_lshrrev_b64 v[8:9], 1, v[8:9]
.LBB4_1081:                             ;   in Loop: Header=BB4_589 Depth=1
	s_or_b64 exec, exec, s[58:59]
	s_orn2_b64 s[18:19], vcc, exec
.LBB4_1082:                             ;   in Loop: Header=BB4_589 Depth=1
	s_or_b64 exec, exec, s[24:25]
	s_and_saveexec_b64 s[24:25], s[18:19]
	s_cbranch_execz .LBB4_1084
; %bb.1083:                             ;   in Loop: Header=BB4_589 Depth=1
	buffer_load_dword v1, off, s[0:3], s33 offset:76 ; 4-byte Folded Reload
	s_waitcnt vmcnt(0)
	v_mad_i64_i32 v[8:9], s[18:19], v0, v1, 0
.LBB4_1084:                             ;   in Loop: Header=BB4_589 Depth=1
	s_or_b64 exec, exec, s[24:25]
	v_lshlrev_b64 v[0:1], 1, v[8:9]
	v_add_co_u32_e32 v0, vcc, v34, v0
	v_addc_co_u32_e32 v1, vcc, v35, v1, vcc
	ds_write_b64 v0, v[0:1] offset:728
	v_and_b32_e32 v0, 0x2000, v60
	v_cmp_ne_u32_e32 vcc, 0, v0
	s_and_saveexec_b64 s[18:19], vcc
	s_cbranch_execz .LBB4_1086
; %bb.1085:                             ;   in Loop: Header=BB4_589 Depth=1
	ds_read_b64 v[0:1], v0 offset:872
	s_waitcnt lgkmcnt(0)
	v_add_co_u32_e32 v0, vcc, 1, v0
	v_addc_co_u32_e32 v1, vcc, 0, v1, vcc
	ds_write_b64 v0, v[0:1] offset:872
.LBB4_1086:                             ;   in Loop: Header=BB4_589 Depth=1
	s_or_b64 exec, exec, s[18:19]
	v_mov_b32_e32 v8, v10
	v_mov_b32_e32 v9, v11
.LBB4_1087:                             ;   in Loop: Header=BB4_589 Depth=1
	s_or_b64 exec, exec, s[22:23]
	s_and_saveexec_b64 s[18:19], s[10:11]
	s_cbranch_execz .LBB4_1106
; %bb.1088:                             ;   in Loop: Header=BB4_589 Depth=1
	s_and_saveexec_b64 s[22:23], s[44:45]
	s_xor_b64 s[22:23], exec, s[22:23]
	s_cbranch_execz .LBB4_1103
; %bb.1089:                             ;   in Loop: Header=BB4_589 Depth=1
	s_and_saveexec_b64 s[24:25], s[12:13]
	s_cbranch_execz .LBB4_1102
; %bb.1090:                             ;   in Loop: Header=BB4_589 Depth=1
	s_mov_b64 s[60:61], exec
	v_mbcnt_lo_u32_b32 v0, s60, 0
	v_mbcnt_hi_u32_b32 v0, s61, v0
	v_cmp_eq_u32_e32 vcc, 0, v0
	s_waitcnt vmcnt(0) lgkmcnt(0)
	buffer_wbinvl1_vol
	s_and_saveexec_b64 s[58:59], vcc
	s_cbranch_execz .LBB4_1092
; %bb.1091:                             ;   in Loop: Header=BB4_589 Depth=1
	s_bcnt1_i32_b64 s60, s[60:61]
	v_mov_b32_e32 v19, s60
	ds_add_u64 v0, v[19:20]
	s_trap 2
.LBB4_1092:                             ;   in Loop: Header=BB4_589 Depth=1
	s_or_b64 exec, exec, s[58:59]
	s_trap 2
	ds_read_b64 v[0:1], v0
	s_waitcnt lgkmcnt(0)
	v_add_co_u32_e32 v36, vcc, v36, v2
	v_addc_co_u32_e32 v37, vcc, 0, v37, vcc
	v_cmp_lt_u64_e32 vcc, v[0:1], v[36:37]
	s_and_saveexec_b64 s[58:59], vcc
	s_cbranch_execz .LBB4_1101
; %bb.1093:                             ;   in Loop: Header=BB4_589 Depth=1
	s_mov_b32 s88, 0
	s_mov_b64 s[60:61], 0
                                        ; implicit-def: $sgpr62_sgpr63
                                        ; implicit-def: $sgpr72_sgpr73
	s_branch .LBB4_1095
.LBB4_1094:                             ;   in Loop: Header=BB4_1095 Depth=2
	s_or_b64 exec, exec, s[76:77]
	s_and_b64 s[74:75], exec, s[78:79]
	s_or_b64 s[60:61], s[74:75], s[60:61]
	s_andn2_b64 s[62:63], s[62:63], exec
	s_and_b64 s[74:75], s[72:73], exec
	s_or_b64 s[62:63], s[62:63], s[74:75]
	s_andn2_b64 exec, exec, s[60:61]
	s_cbranch_execz .LBB4_1099
.LBB4_1095:                             ;   Parent Loop BB4_589 Depth=1
                                        ; =>  This Inner Loop Header: Depth=2
	s_add_i32 s88, s88, 1
	s_cmpk_lg_i32 s88, 0x2710
	s_cselect_b64 s[74:75], -1, 0
	s_and_b64 vcc, exec, s[74:75]
	s_cbranch_vccz .LBB4_1097
; %bb.1096:                             ;   in Loop: Header=BB4_1095 Depth=2
	s_mov_b64 s[78:79], -1
	s_or_b64 s[72:73], s[72:73], exec
	s_and_saveexec_b64 s[76:77], s[74:75]
	s_cbranch_execz .LBB4_1094
	s_branch .LBB4_1098
.LBB4_1097:                             ;   in Loop: Header=BB4_1095 Depth=2
	s_trap 2
	ds_read_b64 v[0:1], v0
	s_andn2_b64 s[74:75], s[74:75], exec
	s_mov_b32 s88, 0
	s_waitcnt lgkmcnt(0)
	flat_load_dword v0, v[0:1] glc
	s_waitcnt vmcnt(0) lgkmcnt(0)
	buffer_wbinvl1_vol
	v_cmp_eq_u32_e32 vcc, 0, v0
	s_and_b64 s[76:77], vcc, exec
	s_or_b64 s[74:75], s[74:75], s[76:77]
	s_mov_b64 s[78:79], -1
	s_or_b64 s[72:73], s[72:73], exec
	s_and_saveexec_b64 s[76:77], s[74:75]
	s_cbranch_execz .LBB4_1094
.LBB4_1098:                             ;   in Loop: Header=BB4_1095 Depth=2
	s_sleep 1
	s_trap 2
	ds_read_b64 v[0:1], v0
	s_waitcnt lgkmcnt(0)
	s_andn2_b64 s[72:73], s[72:73], exec
	v_cmp_ge_u64_e32 vcc, v[0:1], v[36:37]
	s_orn2_b64 s[78:79], vcc, exec
	s_branch .LBB4_1094
.LBB4_1099:                             ;   in Loop: Header=BB4_589 Depth=1
	s_or_b64 exec, exec, s[60:61]
	s_and_saveexec_b64 s[60:61], s[62:63]
	s_xor_b64 s[60:61], exec, s[60:61]
	s_cbranch_execz .LBB4_1101
; %bb.1100:                             ;   in Loop: Header=BB4_589 Depth=1
	v_mov_b32_e32 v0, 1
	ds_write_b32 v0, v0
	s_trap 2
.LBB4_1101:                             ;   in Loop: Header=BB4_589 Depth=1
	s_or_b64 exec, exec, s[58:59]
	;;#ASMSTART
	s_wakeup
	;;#ASMEND
.LBB4_1102:                             ;   in Loop: Header=BB4_589 Depth=1
	s_or_b64 exec, exec, s[24:25]
.LBB4_1103:                             ;   in Loop: Header=BB4_589 Depth=1
	s_andn2_saveexec_b64 s[22:23], s[22:23]
	s_cbranch_execz .LBB4_1105
; %bb.1104:                             ;   in Loop: Header=BB4_589 Depth=1
	s_waitcnt vmcnt(0) lgkmcnt(0)
	buffer_wbinvl1_vol
	s_barrier
.LBB4_1105:                             ;   in Loop: Header=BB4_589 Depth=1
	s_or_b64 exec, exec, s[22:23]
.LBB4_1106:                             ;   in Loop: Header=BB4_589 Depth=1
	s_or_b64 exec, exec, s[18:19]
	s_trap 2
	ds_read_b32 v0, v0
	v_sub_u32_e32 v1, v54, v3
	v_min_i32_e32 v1, v30, v1
	v_cmp_lt_i32_e32 vcc, 0, v1
	s_waitcnt lgkmcnt(0)
	v_readfirstlane_b32 s18, v0
	s_cmp_eq_u32 s18, 0
	s_cselect_b64 s[18:19], -1, 0
	v_and_b32_e32 v0, 16, v60
	s_and_b64 s[18:19], vcc, s[18:19]
	v_cmp_ne_u32_e32 vcc, 0, v0
	s_and_b64 s[22:23], vcc, s[18:19]
	s_and_saveexec_b64 s[18:19], s[22:23]
	s_cbranch_execz .LBB4_1108
; %bb.1107:                             ;   in Loop: Header=BB4_589 Depth=1
	s_waitcnt vmcnt(0)
	buffer_wbinvl1_vol
.LBB4_1108:                             ;   in Loop: Header=BB4_589 Depth=1
	s_or_b64 exec, exec, s[18:19]
	v_and_b32_e32 v0, 32, v60
	v_cmp_ne_u32_e32 vcc, 0, v0
	s_and_saveexec_b64 s[18:19], vcc
	s_cbranch_execz .LBB4_587
; %bb.1109:                             ;   in Loop: Header=BB4_589 Depth=1
	v_add_co_u32_e32 v8, vcc, 1, v8
	v_addc_co_u32_e32 v9, vcc, 0, v9, vcc
	flat_store_dwordx2 v[32:33], v[8:9]
	s_branch .LBB4_587
.LBB4_1110:
	s_or_b64 exec, exec, s[46:47]
	buffer_load_dword v59, off, s[0:3], s33 offset:92 ; 4-byte Folded Reload
	buffer_load_dword v31, off, s[0:3], s33 offset:96 ; 4-byte Folded Reload
	;; [unrolled: 1-line block ×5, first 2 shown]
.LBB4_1111:
	s_or_b64 exec, exec, s[42:43]
.LBB4_1112:
	s_or_b64 exec, exec, s[26:27]
                                        ; implicit-def: $vgpr45_vgpr46
                                        ; implicit-def: $vgpr4_vgpr5
                                        ; implicit-def: $vgpr0_vgpr1
                                        ; kill: killed $vgpr0_vgpr1
                                        ; implicit-def: $vgpr58
                                        ; implicit-def: $vgpr38_vgpr39
                                        ; implicit-def: $vgpr34_vgpr35
                                        ; implicit-def: $vgpr32_vgpr33
                                        ; implicit-def: $vgpr56
                                        ; implicit-def: $vgpr24
                                        ; implicit-def: $vgpr48
.LBB4_1113:
	s_andn2_saveexec_b64 s[22:23], s[40:41]
	s_cbranch_execz .LBB4_1285
; %bb.1114:
	v_mov_b32_e32 v36, 0
	v_cmp_ne_u64_e32 vcc, 0, v[4:5]
	v_mov_b32_e32 v37, 0
	s_and_saveexec_b64 s[24:25], vcc
	s_cbranch_execz .LBB4_1284
; %bb.1115:
	s_waitcnt vmcnt(0)
	v_and_b32_e32 v0, 63, v31
	v_cmp_eq_u32_e64 s[12:13], 0, v0
	v_and_b32_e32 v0, 63, v56
	buffer_store_dword v26, off, s[0:3], s33 offset:84 ; 4-byte Folded Spill
	s_nop 0
	buffer_store_dword v27, off, s[0:3], s33 offset:88 ; 4-byte Folded Spill
	s_trap 2
	buffer_store_dword v0, off, s[0:3], s33 offset:76 ; 4-byte Folded Spill
	buffer_load_dword v12, off, s[0:3], s33 offset:60 ; 4-byte Folded Reload
	buffer_load_dword v13, off, s[0:3], s33 offset:64 ; 4-byte Folded Reload
	s_lshr_b32 s6, s30, 27
	s_add_i32 s30, s30, s6
	v_cmp_eq_u32_e32 vcc, 64, v59
	v_lshrrev_b32_e32 v2, 6, v59
	v_cmp_eq_u32_e64 s[14:15], 0, v0
	v_cmp_lt_u32_e64 s[16:17], v0, v24
	v_lshrrev_b32_e32 v23, 6, v56
	v_lshlrev_b32_e32 v0, 4, v0
	v_lshlrev_b32_e32 v1, 1, v59
	v_mov_b32_e32 v36, 0
	s_ashr_i32 s94, s30, 5
	v_cmp_ge_u32_e64 s[6:7], v56, v59
	v_cmp_ne_u32_e64 s[10:11], 64, v59
	v_cmp_ne_u32_sdwa s[26:27], v59, v62 src0_sel:DWORD src1_sel:WORD_0
	v_mov_b32_e32 v11, 0
	v_lshlrev_b32_e32 v24, 12, v2
	v_lshlrev_b32_e32 v25, 10, v2
	v_and_b32_e32 v28, 0x7f80, v1
	s_mov_b64 s[40:41], 0
	v_lshl_or_b32 v29, v23, 12, v0
	v_mov_b32_e32 v37, 0
	v_mov_b32_e32 v30, 1
	s_xor_b64 s[42:43], vcc, -1
	buffer_store_dword v45, off, s[0:3], s33 offset:68 ; 4-byte Folded Spill
	s_nop 0
	buffer_store_dword v46, off, s[0:3], s33 offset:72 ; 4-byte Folded Spill
	s_waitcnt vmcnt(0)
	v_cmp_ne_u64_e64 s[18:19], 0, v[12:13]
	v_mov_b32_e32 v12, 0
	v_mov_b32_e32 v13, 0
	s_branch .LBB4_1119
.LBB4_1116:                             ;   in Loop: Header=BB4_1119 Depth=1
	s_or_b64 exec, exec, s[44:45]
	v_add_co_u32_e32 v8, vcc, 1, v8
	v_addc_co_u32_e32 v9, vcc, 0, v9, vcc
	flat_store_dwordx2 v[32:33], v[8:9]
.LBB4_1117:                             ;   in Loop: Header=BB4_1119 Depth=1
	s_or_b64 exec, exec, s[20:21]
.LBB4_1118:                             ;   in Loop: Header=BB4_1119 Depth=1
	s_or_b64 exec, exec, s[46:47]
	v_add_co_u32_e32 v12, vcc, v12, v48
	v_addc_co_u32_e32 v13, vcc, 0, v13, vcc
	v_cmp_ge_u64_e32 vcc, v[12:13], v[4:5]
	s_or_b64 s[40:41], vcc, s[40:41]
	s_andn2_b64 exec, exec, s[40:41]
	s_cbranch_execz .LBB4_1283
.LBB4_1119:                             ; =>This Loop Header: Depth=1
                                        ;     Child Loop BB4_1128 Depth 2
                                        ;     Child Loop BB4_1152 Depth 2
	;; [unrolled: 1-line block ×10, first 2 shown]
	v_sub_co_u32_e32 v0, vcc, v4, v12
	v_subb_co_u32_e32 v1, vcc, v5, v13, vcc
	v_cmp_lt_u64_e32 vcc, v[48:49], v[0:1]
	v_cndmask_b32_e64 v15, v1, 0, vcc
	v_cndmask_b32_e32 v14, v0, v48, vcc
	v_cmp_eq_u64_e32 vcc, 0, v[14:15]
	v_add_u32_e32 v0, 15, v14
	v_and_b32_e32 v0, 0x3ffffff0, v0
	s_or_b64 s[44:45], s[6:7], vcc
	v_max_i32_e32 v61, s94, v0
	s_xor_b64 s[20:21], s[44:45], -1
	v_mov_b32_e32 v0, 0
	s_and_saveexec_b64 s[46:47], s[20:21]
	s_cbranch_execz .LBB4_1236
; %bb.1120:                             ;   in Loop: Header=BB4_1119 Depth=1
	s_and_saveexec_b64 s[20:21], s[4:5]
	s_cbranch_execz .LBB4_1122
; %bb.1121:                             ;   in Loop: Header=BB4_1119 Depth=1
	s_trap 2
	ds_read_b64 v[0:1], v0
	s_waitcnt vmcnt(0)
	v_lshlrev_b64 v[15:16], 1, v[45:46]
	s_waitcnt lgkmcnt(0)
	v_add_co_u32_e32 v10, vcc, v0, v15
	v_addc_co_u32_e32 v15, vcc, v1, v16, vcc
	v_lshlrev_b64 v[0:1], 1, v[12:13]
	v_add_co_u32_e32 v0, vcc, v10, v0
	v_addc_co_u32_e32 v1, vcc, v15, v1, vcc
	v_mov_b32_e32 v10, v11
	ds_write_b64 v0, v[0:1]
	ds_write_b64 v0, v[10:11]
.LBB4_1122:                             ;   in Loop: Header=BB4_1119 Depth=1
	s_or_b64 exec, exec, s[20:21]
	v_and_b32_e32 v0, 8, v60
	v_min_u32_e32 v61, v61, v14
	v_cmp_ne_u32_e32 vcc, 0, v0
	s_and_saveexec_b64 s[56:57], vcc
	s_cbranch_execz .LBB4_1144
; %bb.1123:                             ;   in Loop: Header=BB4_1119 Depth=1
	s_waitcnt vmcnt(0)
	v_add_co_u32_e32 v0, vcc, 8, v38
	v_addc_co_u32_e32 v1, vcc, 0, v39, vcc
	s_waitcnt lgkmcnt(0)
	v_add_co_u32_e32 v15, vcc, 1, v8
	v_addc_co_u32_e32 v16, vcc, 0, v9, vcc
	v_cmp_lt_u64_e32 vcc, v[0:1], v[15:16]
	s_and_saveexec_b64 s[58:59], vcc
	s_cbranch_execz .LBB4_1135
; %bb.1124:                             ;   in Loop: Header=BB4_1119 Depth=1
	v_and_b32_e32 v0, 64, v60
	s_mov_b32 s95, 0
	v_cmp_eq_u32_e32 vcc, 0, v0
	s_mov_b64 s[60:61], 0
                                        ; implicit-def: $sgpr62_sgpr63
                                        ; implicit-def: $sgpr72_sgpr73
                                        ; implicit-def: $sgpr74_sgpr75
	s_branch .LBB4_1128
.LBB4_1125:                             ;   in Loop: Header=BB4_1128 Depth=2
	s_waitcnt vmcnt(0) lgkmcnt(0)
	v_add_co_u32_e64 v9, s[20:21], 8, v38
	v_addc_co_u32_e64 v10, s[20:21], 0, v39, s[20:21]
	v_cmp_ge_u64_e64 s[20:21], v[9:10], v[15:16]
	s_or_b64 s[88:89], s[88:89], exec
	s_orn2_b64 s[78:79], s[20:21], exec
.LBB4_1126:                             ;   in Loop: Header=BB4_1128 Depth=2
	s_or_b64 exec, exec, s[92:93]
	s_andn2_b64 s[20:21], s[74:75], exec
	s_and_b64 s[74:75], s[88:89], exec
	s_or_b64 s[74:75], s[20:21], s[74:75]
	s_andn2_b64 s[20:21], s[72:73], exec
	s_and_b64 s[72:73], s[78:79], exec
	s_or_b64 s[72:73], s[20:21], s[72:73]
.LBB4_1127:                             ;   in Loop: Header=BB4_1128 Depth=2
	s_or_b64 exec, exec, s[76:77]
	s_and_b64 s[20:21], exec, s[72:73]
	s_or_b64 s[60:61], s[20:21], s[60:61]
	s_andn2_b64 s[20:21], s[62:63], exec
	s_and_b64 s[62:63], s[74:75], exec
	s_or_b64 s[62:63], s[20:21], s[62:63]
	s_andn2_b64 exec, exec, s[60:61]
	s_cbranch_execz .LBB4_1132
.LBB4_1128:                             ;   Parent Loop BB4_1119 Depth=1
                                        ; =>  This Inner Loop Header: Depth=2
	s_sleep 1
	s_waitcnt vmcnt(0) lgkmcnt(0)
	flat_load_dwordx2 v[38:39], v[32:33] glc
	s_or_b64 s[74:75], s[74:75], exec
	s_or_b64 s[72:73], s[72:73], exec
                                        ; implicit-def: $vgpr0
	s_and_saveexec_b64 s[76:77], vcc
	s_cbranch_execz .LBB4_1127
; %bb.1129:                             ;   in Loop: Header=BB4_1128 Depth=2
	s_cmpk_lt_i32 s95, 0x270f
	s_cselect_b64 s[90:91], -1, 0
	s_cmpk_gt_i32 s95, 0x270e
	s_mov_b64 s[78:79], -1
	s_cbranch_scc0 .LBB4_1131
; %bb.1130:                             ;   in Loop: Header=BB4_1128 Depth=2
	s_trap 2
	ds_read_b64 v[0:1], v0
	s_andn2_b64 s[90:91], s[90:91], exec
	s_mov_b32 s95, 0
	s_mov_b64 s[88:89], 0
	s_waitcnt vmcnt(0) lgkmcnt(0)
	flat_load_dword v0, v[0:1] glc
	s_waitcnt vmcnt(0) lgkmcnt(0)
	buffer_wbinvl1_vol
	v_cmp_eq_u32_e64 s[20:21], 0, v0
	s_and_b64 s[20:21], s[20:21], exec
	s_or_b64 s[90:91], s[90:91], s[20:21]
	s_and_saveexec_b64 s[92:93], s[90:91]
	s_cbranch_execz .LBB4_1126
	s_branch .LBB4_1125
.LBB4_1131:                             ;   in Loop: Header=BB4_1128 Depth=2
	s_add_i32 s95, s95, 1
	s_mov_b64 s[88:89], -1
                                        ; implicit-def: $vgpr0
	s_and_saveexec_b64 s[92:93], s[90:91]
	s_cbranch_execz .LBB4_1126
	s_branch .LBB4_1125
.LBB4_1132:                             ;   in Loop: Header=BB4_1119 Depth=1
	s_or_b64 exec, exec, s[60:61]
	s_xor_b64 s[20:21], s[62:63], -1
	s_and_saveexec_b64 s[60:61], s[20:21]
	s_xor_b64 s[20:21], exec, s[60:61]
	s_cbranch_execz .LBB4_1134
; %bb.1133:                             ;   in Loop: Header=BB4_1119 Depth=1
	v_or_b32_e32 v60, 64, v60
	s_waitcnt lgkmcnt(0)
	ds_write_b32 v0, v0
	s_trap 2
.LBB4_1134:                             ;   in Loop: Header=BB4_1119 Depth=1
	s_or_b64 exec, exec, s[20:21]
.LBB4_1135:                             ;   in Loop: Header=BB4_1119 Depth=1
	s_or_b64 exec, exec, s[58:59]
	v_and_b32_e32 v0, 0x100, v60
	v_cmp_ne_u32_e32 vcc, 0, v0
	v_and_b32_e32 v0, 7, v8
	s_mov_b64 s[20:21], -1
	;;#ASMSTART
	s_wakeup
	;;#ASMEND
                                        ; implicit-def: $vgpr8_vgpr9
	s_and_saveexec_b64 s[58:59], vcc
	s_cbranch_execz .LBB4_1139
; %bb.1136:                             ;   in Loop: Header=BB4_1119 Depth=1
	v_mad_u64_u32 v[17:18], s[20:21], v0, 24, v[6:7]
	v_lshlrev_b32_e32 v10, 1, v61
                                        ; implicit-def: $vgpr8_vgpr9
	flat_load_dword v1, v[17:18]
	s_nop 0
	flat_store_dwordx2 v[17:18], v[10:11] offset:8
	s_waitcnt vmcnt(0) lgkmcnt(0)
	v_cmp_ne_u32_e32 vcc, 1, v1
	v_cmp_eq_u32_e64 s[20:21], 1, v1
	s_and_saveexec_b64 s[60:61], s[20:21]
	s_cbranch_execz .LBB4_1138
; %bb.1137:                             ;   in Loop: Header=BB4_1119 Depth=1
	flat_load_dword v8, v[17:18] offset:4 glc
	s_waitcnt vmcnt(0) lgkmcnt(0)
	v_ashrrev_i32_e32 v9, 31, v8
	v_lshrrev_b64 v[8:9], 1, v[8:9]
.LBB4_1138:                             ;   in Loop: Header=BB4_1119 Depth=1
	s_or_b64 exec, exec, s[60:61]
	s_orn2_b64 s[20:21], vcc, exec
.LBB4_1139:                             ;   in Loop: Header=BB4_1119 Depth=1
	s_or_b64 exec, exec, s[58:59]
	s_and_saveexec_b64 s[58:59], s[20:21]
; %bb.1140:                             ;   in Loop: Header=BB4_1119 Depth=1
	v_mad_i64_i32 v[8:9], s[20:21], v0, v58, 0
; %bb.1141:                             ;   in Loop: Header=BB4_1119 Depth=1
	s_or_b64 exec, exec, s[58:59]
	v_lshlrev_b64 v[0:1], 1, v[8:9]
	v_add_co_u32_e32 v0, vcc, v34, v0
	v_addc_co_u32_e32 v1, vcc, v35, v1, vcc
	ds_write_b64 v0, v[0:1] offset:784
	v_and_b32_e32 v0, 0x2000, v60
	v_cmp_ne_u32_e32 vcc, 0, v0
	s_and_saveexec_b64 s[20:21], vcc
	s_cbranch_execz .LBB4_1143
; %bb.1142:                             ;   in Loop: Header=BB4_1119 Depth=1
	ds_read_b64 v[0:1], v0 offset:872
	s_waitcnt lgkmcnt(0)
	v_add_co_u32_e32 v0, vcc, 1, v0
	v_addc_co_u32_e32 v1, vcc, 0, v1, vcc
	ds_write_b64 v0, v[0:1] offset:872
.LBB4_1143:                             ;   in Loop: Header=BB4_1119 Depth=1
	s_or_b64 exec, exec, s[20:21]
	v_mov_b32_e32 v8, v15
	v_mov_b32_e32 v9, v16
.LBB4_1144:                             ;   in Loop: Header=BB4_1119 Depth=1
	s_or_b64 exec, exec, s[56:57]
	s_and_saveexec_b64 s[20:21], s[10:11]
	s_cbranch_execz .LBB4_1163
; %bb.1145:                             ;   in Loop: Header=BB4_1119 Depth=1
	s_and_saveexec_b64 s[56:57], s[26:27]
	s_xor_b64 s[56:57], exec, s[56:57]
	s_cbranch_execz .LBB4_1160
; %bb.1146:                             ;   in Loop: Header=BB4_1119 Depth=1
	s_and_saveexec_b64 s[58:59], s[12:13]
	s_cbranch_execz .LBB4_1159
; %bb.1147:                             ;   in Loop: Header=BB4_1119 Depth=1
	s_mov_b64 s[62:63], exec
	v_mbcnt_lo_u32_b32 v0, s62, 0
	v_mbcnt_hi_u32_b32 v0, s63, v0
	v_cmp_eq_u32_e32 vcc, 0, v0
	s_waitcnt vmcnt(0) lgkmcnt(0)
	buffer_wbinvl1_vol
	s_and_saveexec_b64 s[60:61], vcc
	s_cbranch_execz .LBB4_1149
; %bb.1148:                             ;   in Loop: Header=BB4_1119 Depth=1
	s_bcnt1_i32_b64 s62, s[62:63]
	v_mov_b32_e32 v10, s62
	ds_add_u64 v0, v[10:11]
	s_trap 2
.LBB4_1149:                             ;   in Loop: Header=BB4_1119 Depth=1
	s_or_b64 exec, exec, s[60:61]
	s_trap 2
	ds_read_b64 v[0:1], v0
	s_waitcnt lgkmcnt(0)
	v_add_co_u32_e32 v36, vcc, v36, v2
	v_addc_co_u32_e32 v37, vcc, 0, v37, vcc
	v_cmp_lt_u64_e32 vcc, v[0:1], v[36:37]
	s_and_saveexec_b64 s[60:61], vcc
	s_cbranch_execz .LBB4_1158
; %bb.1150:                             ;   in Loop: Header=BB4_1119 Depth=1
	s_mov_b32 s90, 0
	s_mov_b64 s[62:63], 0
                                        ; implicit-def: $sgpr72_sgpr73
                                        ; implicit-def: $sgpr74_sgpr75
	s_branch .LBB4_1152
.LBB4_1151:                             ;   in Loop: Header=BB4_1152 Depth=2
	s_or_b64 exec, exec, s[78:79]
	s_and_b64 s[76:77], exec, s[88:89]
	s_or_b64 s[62:63], s[76:77], s[62:63]
	s_andn2_b64 s[72:73], s[72:73], exec
	s_and_b64 s[76:77], s[74:75], exec
	s_or_b64 s[72:73], s[72:73], s[76:77]
	s_andn2_b64 exec, exec, s[62:63]
	s_cbranch_execz .LBB4_1156
.LBB4_1152:                             ;   Parent Loop BB4_1119 Depth=1
                                        ; =>  This Inner Loop Header: Depth=2
	s_add_i32 s90, s90, 1
	s_cmpk_lg_i32 s90, 0x2710
	s_cselect_b64 s[76:77], -1, 0
	s_and_b64 vcc, exec, s[76:77]
	s_cbranch_vccz .LBB4_1154
; %bb.1153:                             ;   in Loop: Header=BB4_1152 Depth=2
	s_mov_b64 s[88:89], -1
	s_or_b64 s[74:75], s[74:75], exec
	s_and_saveexec_b64 s[78:79], s[76:77]
	s_cbranch_execz .LBB4_1151
	s_branch .LBB4_1155
.LBB4_1154:                             ;   in Loop: Header=BB4_1152 Depth=2
	s_trap 2
	ds_read_b64 v[0:1], v0
	s_andn2_b64 s[76:77], s[76:77], exec
	s_mov_b32 s90, 0
	s_waitcnt lgkmcnt(0)
	flat_load_dword v0, v[0:1] glc
	s_waitcnt vmcnt(0) lgkmcnt(0)
	buffer_wbinvl1_vol
	v_cmp_eq_u32_e32 vcc, 0, v0
	s_and_b64 s[78:79], vcc, exec
	s_or_b64 s[76:77], s[76:77], s[78:79]
	s_mov_b64 s[88:89], -1
	s_or_b64 s[74:75], s[74:75], exec
	s_and_saveexec_b64 s[78:79], s[76:77]
	s_cbranch_execz .LBB4_1151
.LBB4_1155:                             ;   in Loop: Header=BB4_1152 Depth=2
	s_sleep 1
	s_trap 2
	ds_read_b64 v[0:1], v0
	s_waitcnt lgkmcnt(0)
	s_andn2_b64 s[74:75], s[74:75], exec
	v_cmp_ge_u64_e32 vcc, v[0:1], v[36:37]
	s_orn2_b64 s[88:89], vcc, exec
	s_branch .LBB4_1151
.LBB4_1156:                             ;   in Loop: Header=BB4_1119 Depth=1
	s_or_b64 exec, exec, s[62:63]
	s_and_saveexec_b64 s[62:63], s[72:73]
	s_xor_b64 s[62:63], exec, s[62:63]
	s_cbranch_execz .LBB4_1158
; %bb.1157:                             ;   in Loop: Header=BB4_1119 Depth=1
	ds_write_b32 v0, v30
	s_trap 2
.LBB4_1158:                             ;   in Loop: Header=BB4_1119 Depth=1
	s_or_b64 exec, exec, s[60:61]
	;;#ASMSTART
	s_wakeup
	;;#ASMEND
.LBB4_1159:                             ;   in Loop: Header=BB4_1119 Depth=1
	s_or_b64 exec, exec, s[58:59]
.LBB4_1160:                             ;   in Loop: Header=BB4_1119 Depth=1
	s_andn2_saveexec_b64 s[56:57], s[56:57]
	s_cbranch_execz .LBB4_1162
; %bb.1161:                             ;   in Loop: Header=BB4_1119 Depth=1
	s_waitcnt vmcnt(0) lgkmcnt(0)
	buffer_wbinvl1_vol
	s_barrier
.LBB4_1162:                             ;   in Loop: Header=BB4_1119 Depth=1
	s_or_b64 exec, exec, s[56:57]
.LBB4_1163:                             ;   in Loop: Header=BB4_1119 Depth=1
	s_or_b64 exec, exec, s[20:21]
	s_trap 2
	ds_read_b32 v19, v0
	v_and_b32_e32 v0, 0x4000, v60
	v_cmp_ne_u32_e32 vcc, 0, v0
	s_and_b64 s[56:57], s[42:43], vcc
	s_and_saveexec_b64 s[20:21], s[56:57]
	s_cbranch_execz .LBB4_1182
; %bb.1164:                             ;   in Loop: Header=BB4_1119 Depth=1
	s_and_saveexec_b64 s[56:57], s[26:27]
	s_xor_b64 s[56:57], exec, s[56:57]
	s_cbranch_execz .LBB4_1179
; %bb.1165:                             ;   in Loop: Header=BB4_1119 Depth=1
	s_and_saveexec_b64 s[58:59], s[12:13]
	s_cbranch_execz .LBB4_1178
; %bb.1166:                             ;   in Loop: Header=BB4_1119 Depth=1
	s_mov_b64 s[62:63], exec
	v_mbcnt_lo_u32_b32 v0, s62, 0
	v_mbcnt_hi_u32_b32 v0, s63, v0
	v_cmp_eq_u32_e32 vcc, 0, v0
	s_waitcnt vmcnt(0) lgkmcnt(0)
	buffer_wbinvl1_vol
	s_and_saveexec_b64 s[60:61], vcc
	s_cbranch_execz .LBB4_1168
; %bb.1167:                             ;   in Loop: Header=BB4_1119 Depth=1
	s_bcnt1_i32_b64 s62, s[62:63]
	v_mov_b32_e32 v10, s62
	ds_add_u64 v0, v[10:11]
	s_trap 2
.LBB4_1168:                             ;   in Loop: Header=BB4_1119 Depth=1
	s_or_b64 exec, exec, s[60:61]
	s_trap 2
	ds_read_b64 v[0:1], v0
	s_waitcnt lgkmcnt(0)
	v_add_co_u32_e32 v36, vcc, v36, v2
	v_addc_co_u32_e32 v37, vcc, 0, v37, vcc
	v_cmp_lt_u64_e32 vcc, v[0:1], v[36:37]
	s_and_saveexec_b64 s[60:61], vcc
	s_cbranch_execz .LBB4_1177
; %bb.1169:                             ;   in Loop: Header=BB4_1119 Depth=1
	s_mov_b32 s90, 0
	s_mov_b64 s[62:63], 0
                                        ; implicit-def: $sgpr72_sgpr73
                                        ; implicit-def: $sgpr74_sgpr75
	s_branch .LBB4_1171
.LBB4_1170:                             ;   in Loop: Header=BB4_1171 Depth=2
	s_or_b64 exec, exec, s[78:79]
	s_and_b64 s[76:77], exec, s[88:89]
	s_or_b64 s[62:63], s[76:77], s[62:63]
	s_andn2_b64 s[72:73], s[72:73], exec
	s_and_b64 s[76:77], s[74:75], exec
	s_or_b64 s[72:73], s[72:73], s[76:77]
	s_andn2_b64 exec, exec, s[62:63]
	s_cbranch_execz .LBB4_1175
.LBB4_1171:                             ;   Parent Loop BB4_1119 Depth=1
                                        ; =>  This Inner Loop Header: Depth=2
	s_add_i32 s90, s90, 1
	s_cmpk_lg_i32 s90, 0x2710
	s_cselect_b64 s[76:77], -1, 0
	s_and_b64 vcc, exec, s[76:77]
	s_cbranch_vccz .LBB4_1173
; %bb.1172:                             ;   in Loop: Header=BB4_1171 Depth=2
	s_mov_b64 s[88:89], -1
	s_or_b64 s[74:75], s[74:75], exec
	s_and_saveexec_b64 s[78:79], s[76:77]
	s_cbranch_execz .LBB4_1170
	s_branch .LBB4_1174
.LBB4_1173:                             ;   in Loop: Header=BB4_1171 Depth=2
	s_trap 2
	ds_read_b64 v[0:1], v0
	s_andn2_b64 s[76:77], s[76:77], exec
	s_mov_b32 s90, 0
	s_waitcnt lgkmcnt(0)
	flat_load_dword v0, v[0:1] glc
	s_waitcnt vmcnt(0) lgkmcnt(0)
	buffer_wbinvl1_vol
	v_cmp_eq_u32_e32 vcc, 0, v0
	s_and_b64 s[78:79], vcc, exec
	s_or_b64 s[76:77], s[76:77], s[78:79]
	s_mov_b64 s[88:89], -1
	s_or_b64 s[74:75], s[74:75], exec
	s_and_saveexec_b64 s[78:79], s[76:77]
	s_cbranch_execz .LBB4_1170
.LBB4_1174:                             ;   in Loop: Header=BB4_1171 Depth=2
	s_sleep 1
	s_trap 2
	ds_read_b64 v[0:1], v0
	s_waitcnt lgkmcnt(0)
	s_andn2_b64 s[74:75], s[74:75], exec
	v_cmp_ge_u64_e32 vcc, v[0:1], v[36:37]
	s_orn2_b64 s[88:89], vcc, exec
	s_branch .LBB4_1170
.LBB4_1175:                             ;   in Loop: Header=BB4_1119 Depth=1
	s_or_b64 exec, exec, s[62:63]
	s_and_saveexec_b64 s[62:63], s[72:73]
	s_xor_b64 s[62:63], exec, s[62:63]
	s_cbranch_execz .LBB4_1177
; %bb.1176:                             ;   in Loop: Header=BB4_1119 Depth=1
	ds_write_b32 v0, v30
	s_trap 2
.LBB4_1177:                             ;   in Loop: Header=BB4_1119 Depth=1
	s_or_b64 exec, exec, s[60:61]
	;;#ASMSTART
	s_wakeup
	;;#ASMEND
.LBB4_1178:                             ;   in Loop: Header=BB4_1119 Depth=1
	s_or_b64 exec, exec, s[58:59]
.LBB4_1179:                             ;   in Loop: Header=BB4_1119 Depth=1
	s_andn2_saveexec_b64 s[56:57], s[56:57]
	s_cbranch_execz .LBB4_1181
; %bb.1180:                             ;   in Loop: Header=BB4_1119 Depth=1
	s_waitcnt vmcnt(0) lgkmcnt(0)
	buffer_wbinvl1_vol
	s_barrier
.LBB4_1181:                             ;   in Loop: Header=BB4_1119 Depth=1
	s_or_b64 exec, exec, s[56:57]
.LBB4_1182:                             ;   in Loop: Header=BB4_1119 Depth=1
	s_or_b64 exec, exec, s[20:21]
	s_trap 2
	ds_read_b64 v[15:16], v0
	s_waitcnt lgkmcnt(0)
	v_cmp_eq_u64_e32 vcc, 0, v[15:16]
	s_cbranch_vccnz .LBB4_1190
; %bb.1183:                             ;   in Loop: Header=BB4_1119 Depth=1
	s_trap 2
	ds_read_b64 v[17:18], v0
	s_waitcnt lgkmcnt(0)
	v_cmp_eq_u64_e32 vcc, 0, v[17:18]
	s_cbranch_vccnz .LBB4_1190
; %bb.1184:                             ;   in Loop: Header=BB4_1119 Depth=1
	s_mov_b64 s[20:21], -1
	s_and_saveexec_b64 s[56:57], s[14:15]
	s_cbranch_execz .LBB4_1186
; %bb.1185:                             ;   in Loop: Header=BB4_1119 Depth=1
	ds_read_b32 v0, v0 offset:720
	s_waitcnt lgkmcnt(0)
	v_and_b32_e32 v0, 15, v0
	v_cmp_eq_u32_e32 vcc, 0, v0
	s_orn2_b64 s[20:21], vcc, exec
.LBB4_1186:                             ;   in Loop: Header=BB4_1119 Depth=1
	s_or_b64 exec, exec, s[56:57]
	s_and_saveexec_b64 s[56:57], s[16:17]
	s_cbranch_execz .LBB4_1188
; %bb.1187:                             ;   in Loop: Header=BB4_1119 Depth=1
	ds_read_b32 v0, v0 offset:784
	s_waitcnt lgkmcnt(0)
	v_and_b32_e32 v0, 15, v0
	v_cmp_eq_u32_e32 vcc, 0, v0
	s_and_b64 s[58:59], s[20:21], vcc
	s_andn2_b64 s[20:21], s[20:21], exec
	s_and_b64 s[58:59], s[58:59], exec
	s_or_b64 s[20:21], s[20:21], s[58:59]
.LBB4_1188:                             ;   in Loop: Header=BB4_1119 Depth=1
	s_or_b64 exec, exec, s[56:57]
	v_cmp_eq_u32_e32 vcc, 0, v19
	s_xor_b64 s[20:21], s[20:21], -1
	v_cndmask_b32_e32 v10, 0, v61, vcc
	v_cndmask_b32_e64 v0, 0, 1, s[20:21]
	v_lshlrev_b32_e32 v50, 1, v10
	s_mov_b64 s[58:59], -1
	v_cmp_ne_u32_e32 vcc, 0, v0
	v_mov_b32_e32 v26, 0
	s_cbranch_vccz .LBB4_1191
; %bb.1189:                             ;   in Loop: Header=BB4_1119 Depth=1
	v_mov_b32_e32 v51, v56
	s_and_saveexec_b64 s[20:21], s[58:59]
	s_cbranch_execnz .LBB4_1202
	s_branch .LBB4_1210
.LBB4_1190:                             ;   in Loop: Header=BB4_1119 Depth=1
	s_mov_b64 s[20:21], 0
	s_and_saveexec_b64 s[56:57], s[10:11]
	s_cbranch_execnz .LBB4_1211
	s_branch .LBB4_1229
.LBB4_1191:                             ;   in Loop: Header=BB4_1119 Depth=1
	v_lshrrev_b32_e32 v0, 11, v10
	v_sub_u32_e32 v1, v0, v23
	v_cmp_lt_i32_e32 vcc, 0, v1
	s_and_saveexec_b64 s[20:21], vcc
	s_cbranch_execz .LBB4_1195
; %bb.1192:                             ;   in Loop: Header=BB4_1119 Depth=1
	v_mov_b32_e32 v20, v18
	v_mov_b32_e32 v22, v16
	;; [unrolled: 1-line block ×5, first 2 shown]
	s_mov_b64 s[56:57], 0
	v_mov_b32_e32 v19, v17
	v_mov_b32_e32 v21, v15
.LBB4_1193:                             ;   Parent Loop BB4_1119 Depth=1
                                        ; =>  This Inner Loop Header: Depth=2
	v_add_co_u32_e32 v26, vcc, v29, v21
	v_addc_co_u32_e32 v27, vcc, 0, v22, vcc
	global_load_dwordx4 v[51:54], v[26:27], off glc slc
	global_load_dwordx4 v[40:43], v[26:27], off offset:1024 glc slc
	global_load_dwordx4 v[44:47], v[26:27], off offset:2048 glc slc
	;; [unrolled: 1-line block ×3, first 2 shown]
	v_add_co_u32_e32 v26, vcc, v29, v19
	v_addc_co_u32_e32 v27, vcc, 0, v20, vcc
	v_add_co_u32_e32 v21, vcc, v21, v24
	v_addc_co_u32_e32 v22, vcc, 0, v22, vcc
	v_add_co_u32_e32 v19, vcc, v19, v24
	v_sub_u32_e32 v1, v1, v2
	v_addc_co_u32_e32 v20, vcc, 0, v20, vcc
	v_cmp_gt_i32_e32 vcc, 1, v1
	s_or_b64 s[56:57], vcc, s[56:57]
	s_waitcnt vmcnt(0)
	global_store_dwordx4 v[26:27], v[51:54], off glc slc
	global_store_dwordx4 v[26:27], v[40:43], off offset:1024 glc slc
	global_store_dwordx4 v[26:27], v[44:47], off offset:2048 glc slc
	;; [unrolled: 1-line block ×3, first 2 shown]
	s_andn2_b64 exec, exec, s[56:57]
	s_cbranch_execnz .LBB4_1193
; %bb.1194:                             ;   in Loop: Header=BB4_1119 Depth=1
	s_or_b64 exec, exec, s[56:57]
	buffer_load_dword v45, off, s[0:3], s33 offset:68 ; 4-byte Folded Reload
	buffer_load_dword v46, off, s[0:3], s33 offset:72 ; 4-byte Folded Reload
	v_mov_b32_e32 v56, v23
	v_mov_b32_e32 v58, v3
	;; [unrolled: 1-line block ×4, first 2 shown]
.LBB4_1195:                             ;   in Loop: Header=BB4_1119 Depth=1
	s_or_b64 exec, exec, s[20:21]
	v_lshlrev_b32_e32 v0, 12, v0
	v_cmp_ne_u32_e32 vcc, v50, v0
	s_mov_b64 s[58:59], 0
	v_mov_b32_e32 v26, 0
                                        ; implicit-def: $vgpr51
	s_and_saveexec_b64 s[56:57], vcc
	s_cbranch_execz .LBB4_1201
; %bb.1196:                             ;   in Loop: Header=BB4_1119 Depth=1
	buffer_load_dword v3, off, s[0:3], s33 offset:76 ; 4-byte Folded Reload
	v_lshlrev_b32_e32 v1, 6, v1
	v_sub_u32_e32 v20, v50, v0
	s_waitcnt vmcnt(0)
	v_sub_u32_e32 v1, v3, v1
	v_ashrrev_i32_e32 v19, 31, v1
	v_lshrrev_b32_e32 v19, 26, v19
	v_add_u32_e32 v19, v1, v19
	v_ashrrev_i32_e32 v21, 6, v19
	v_and_b32_e32 v19, 0xffffffc0, v19
	v_sub_u32_e32 v1, v1, v19
	v_lshlrev_b32_e32 v19, 4, v1
	v_lshl_add_u32 v26, v21, 10, v19
	v_ashrrev_i32_e32 v19, 31, v20
	v_lshrrev_b32_e32 v19, 22, v19
	v_add_u32_e32 v19, v20, v19
	v_ashrrev_i32_e32 v27, 10, v19
	v_and_b32_e32 v19, 0xfffffc00, v19
	v_sub_u32_e32 v22, v20, v26
	v_sub_u32_e32 v20, v20, v19
	v_cmp_lt_i32_e32 vcc, 15, v20
	v_addc_co_u32_e64 v27, s[20:21], 0, v27, vcc
	v_sub_u32_e32 v21, v27, v21
	v_cmp_lt_i32_e64 s[20:21], 15, v22
	s_and_saveexec_b64 s[58:59], s[20:21]
	s_cbranch_execz .LBB4_1200
; %bb.1197:                             ;   in Loop: Header=BB4_1119 Depth=1
	v_add_u32_e32 v26, v26, v0
	v_ashrrev_i32_e32 v27, 31, v26
	s_mov_b64 s[60:61], 0
.LBB4_1198:                             ;   Parent Loop BB4_1119 Depth=1
                                        ; =>  This Inner Loop Header: Depth=2
	v_add_co_u32_e64 v51, s[20:21], v15, v26
	v_addc_co_u32_e64 v52, s[20:21], v16, v27, s[20:21]
	global_load_dwordx4 v[51:54], v[51:52], off glc slc
	v_add_co_u32_e64 v40, s[20:21], v17, v26
	v_addc_co_u32_e64 v41, s[20:21], v18, v27, s[20:21]
	v_add_co_u32_e64 v26, s[20:21], v26, v25
	v_sub_u32_e32 v22, v22, v25
	v_addc_co_u32_e64 v27, s[20:21], 0, v27, s[20:21]
	v_cmp_gt_i32_e64 s[20:21], 16, v22
	v_sub_u32_e32 v21, v21, v2
	s_or_b64 s[60:61], s[20:21], s[60:61]
	s_waitcnt vmcnt(0)
	global_store_dwordx4 v[40:41], v[51:54], off glc slc
	s_andn2_b64 exec, exec, s[60:61]
	s_cbranch_execnz .LBB4_1198
; %bb.1199:                             ;   in Loop: Header=BB4_1119 Depth=1
	s_or_b64 exec, exec, s[60:61]
.LBB4_1200:                             ;   in Loop: Header=BB4_1119 Depth=1
	s_or_b64 exec, exec, s[58:59]
	v_and_b32_e32 v22, 14, v50
	v_sub_u32_e32 v26, v20, v22
	v_cndmask_b32_e32 v26, 0, v26, vcc
	v_cndmask_b32_e32 v50, v20, v22, vcc
	v_cmp_lt_i32_e32 vcc, 0, v21
	v_add3_u32 v26, v19, v0, v26
	v_cndmask_b32_e32 v0, 0, v2, vcc
	v_sub_u32_e32 v0, v0, v21
	v_cmp_ne_u32_e32 vcc, 0, v50
	v_lshl_add_u32 v51, v0, 6, v1
	s_and_b64 s[58:59], vcc, exec
.LBB4_1201:                             ;   in Loop: Header=BB4_1119 Depth=1
	s_or_b64 exec, exec, s[56:57]
	s_and_saveexec_b64 s[20:21], s[58:59]
	s_cbranch_execz .LBB4_1210
.LBB4_1202:                             ;   in Loop: Header=BB4_1119 Depth=1
	v_ashrrev_i32_e32 v0, 31, v51
	v_ashrrev_i32_e32 v1, 31, v50
	v_lshrrev_b32_e32 v0, 26, v0
	v_lshrrev_b32_e32 v1, 22, v1
	v_add_u32_e32 v19, v51, v0
	v_add_u32_e32 v1, v50, v1
	v_ashrrev_i32_e32 v0, 6, v19
	v_ashrrev_i32_e32 v27, 10, v1
	v_sub_u32_e32 v1, v27, v0
	v_cmp_lt_i32_e32 vcc, 0, v1
	s_and_saveexec_b64 s[56:57], vcc
	s_cbranch_execz .LBB4_1206
; %bb.1203:                             ;   in Loop: Header=BB4_1119 Depth=1
	v_and_b32_e32 v19, 0x7fffffc0, v19
	v_sub_u32_e32 v19, v51, v19
	v_lshlrev_b32_e32 v19, 1, v19
	v_lshlrev_b32_e32 v20, 10, v0
	v_add3_u32 v52, v19, v26, v20
	v_mov_b32_e32 v20, v18
	v_mov_b32_e32 v22, v16
	v_ashrrev_i32_e32 v53, 31, v52
	s_mov_b64 s[58:59], 0
	v_mov_b32_e32 v19, v17
	v_mov_b32_e32 v21, v15
.LBB4_1204:                             ;   Parent Loop BB4_1119 Depth=1
                                        ; =>  This Inner Loop Header: Depth=2
	v_add_co_u32_e32 v54, vcc, v52, v21
	v_addc_co_u32_e32 v55, vcc, v53, v22, vcc
	flat_load_ushort v40, v[54:55] glc slc
	flat_load_ushort v41, v[54:55] offset:128 glc slc
	flat_load_ushort v42, v[54:55] offset:256 glc slc
	;; [unrolled: 1-line block ×4, first 2 shown]
	s_waitcnt vmcnt(0)
	flat_load_ushort v45, v[54:55] offset:640 glc slc
	flat_load_ushort v46, v[54:55] offset:768 glc slc
	;; [unrolled: 1-line block ×3, first 2 shown]
	v_add_co_u32_e32 v54, vcc, v52, v19
	v_addc_co_u32_e32 v55, vcc, v53, v20, vcc
	v_add_co_u32_e32 v21, vcc, v21, v25
	v_addc_co_u32_e32 v22, vcc, 0, v22, vcc
	v_add_co_u32_e32 v19, vcc, v19, v25
	v_sub_u32_e32 v1, v1, v2
	v_addc_co_u32_e32 v20, vcc, 0, v20, vcc
	v_cmp_gt_i32_e32 vcc, 1, v1
	s_or_b64 s[58:59], vcc, s[58:59]
	s_waitcnt lgkmcnt(0)
	flat_store_short v[54:55], v40 glc slc
	flat_store_short v[54:55], v41 offset:128 glc slc
	flat_store_short v[54:55], v42 offset:256 glc slc
	flat_store_short v[54:55], v43 offset:384 glc slc
	flat_store_short v[54:55], v44 offset:512 glc slc
	s_waitcnt vmcnt(0)
	flat_store_short v[54:55], v45 offset:640 glc slc
	flat_store_short v[54:55], v46 offset:768 glc slc
	;; [unrolled: 1-line block ×3, first 2 shown]
	s_andn2_b64 exec, exec, s[58:59]
	s_cbranch_execnz .LBB4_1204
; %bb.1205:                             ;   in Loop: Header=BB4_1119 Depth=1
	s_or_b64 exec, exec, s[58:59]
	buffer_load_dword v45, off, s[0:3], s33 offset:68 ; 4-byte Folded Reload
	buffer_load_dword v46, off, s[0:3], s33 offset:72 ; 4-byte Folded Reload
.LBB4_1206:                             ;   in Loop: Header=BB4_1119 Depth=1
	s_or_b64 exec, exec, s[56:57]
	v_lshlrev_b32_e32 v19, 10, v27
	v_cmp_ne_u32_e32 vcc, v50, v19
	s_and_b64 exec, exec, vcc
	s_cbranch_execz .LBB4_1210
; %bb.1207:                             ;   in Loop: Header=BB4_1119 Depth=1
	v_lshlrev_b32_e32 v0, 6, v0
	v_sub_u32_e32 v0, v51, v0
	v_lshlrev_b32_e32 v1, 6, v1
	v_sub_u32_e32 v0, v0, v1
	v_ashrrev_i32_e32 v1, 31, v0
	v_lshrrev_b32_e32 v1, 26, v1
	v_add_u32_e32 v1, v0, v1
	v_and_b32_e32 v20, 0x7fffffc0, v1
	v_sub_u32_e32 v0, v0, v20
	v_lshlrev_b32_e32 v1, 1, v1
	v_and_b32_e32 v1, 0xffffff80, v1
	v_lshlrev_b32_e32 v0, 1, v0
	v_add3_u32 v1, v1, v0, v19
	v_sub_u32_e32 v0, v50, v1
	v_cmp_lt_i32_e32 vcc, 1, v0
	s_and_b64 exec, exec, vcc
	s_cbranch_execz .LBB4_1210
; %bb.1208:                             ;   in Loop: Header=BB4_1119 Depth=1
	v_add_u32_e32 v1, v1, v26
	v_ashrrev_i32_e32 v19, 31, v1
	s_mov_b64 s[56:57], 0
.LBB4_1209:                             ;   Parent Loop BB4_1119 Depth=1
                                        ; =>  This Inner Loop Header: Depth=2
	v_add_co_u32_e32 v20, vcc, v15, v1
	v_addc_co_u32_e32 v21, vcc, v16, v19, vcc
	flat_load_ushort v22, v[20:21] glc slc
	v_add_co_u32_e32 v20, vcc, v17, v1
	v_addc_co_u32_e32 v21, vcc, v18, v19, vcc
	v_add_co_u32_e32 v1, vcc, v1, v28
	v_sub_u32_e32 v0, v0, v28
	v_addc_co_u32_e32 v19, vcc, 0, v19, vcc
	v_cmp_gt_i32_e32 vcc, 2, v0
	s_or_b64 s[56:57], vcc, s[56:57]
	s_waitcnt vmcnt(0) lgkmcnt(0)
	flat_store_short v[20:21], v22 glc slc
	s_andn2_b64 exec, exec, s[56:57]
	s_cbranch_execnz .LBB4_1209
.LBB4_1210:                             ;   in Loop: Header=BB4_1119 Depth=1
	s_or_b64 exec, exec, s[20:21]
	v_cmp_ne_u32_e64 s[20:21], 0, v10
	s_and_saveexec_b64 s[56:57], s[10:11]
	s_cbranch_execz .LBB4_1229
.LBB4_1211:                             ;   in Loop: Header=BB4_1119 Depth=1
	s_and_saveexec_b64 s[58:59], s[26:27]
	s_xor_b64 s[58:59], exec, s[58:59]
	s_cbranch_execz .LBB4_1226
; %bb.1212:                             ;   in Loop: Header=BB4_1119 Depth=1
	s_and_saveexec_b64 s[60:61], s[12:13]
	s_cbranch_execz .LBB4_1225
; %bb.1213:                             ;   in Loop: Header=BB4_1119 Depth=1
	s_mov_b64 s[72:73], exec
	v_mbcnt_lo_u32_b32 v0, s72, 0
	v_mbcnt_hi_u32_b32 v0, s73, v0
	v_cmp_eq_u32_e32 vcc, 0, v0
	s_waitcnt vmcnt(0) lgkmcnt(0)
	buffer_wbinvl1_vol
	s_and_saveexec_b64 s[62:63], vcc
	s_cbranch_execz .LBB4_1215
; %bb.1214:                             ;   in Loop: Header=BB4_1119 Depth=1
	s_bcnt1_i32_b64 s72, s[72:73]
	v_mov_b32_e32 v10, s72
	ds_add_u64 v0, v[10:11]
	s_trap 2
.LBB4_1215:                             ;   in Loop: Header=BB4_1119 Depth=1
	s_or_b64 exec, exec, s[62:63]
	s_trap 2
	ds_read_b64 v[0:1], v0
	s_waitcnt lgkmcnt(0)
	v_add_co_u32_e32 v36, vcc, v36, v2
	v_addc_co_u32_e32 v37, vcc, 0, v37, vcc
	v_cmp_lt_u64_e32 vcc, v[0:1], v[36:37]
	s_and_saveexec_b64 s[62:63], vcc
	s_cbranch_execz .LBB4_1224
; %bb.1216:                             ;   in Loop: Header=BB4_1119 Depth=1
	s_mov_b32 s92, 0
	s_mov_b64 s[72:73], 0
                                        ; implicit-def: $sgpr74_sgpr75
                                        ; implicit-def: $sgpr76_sgpr77
	s_branch .LBB4_1218
.LBB4_1217:                             ;   in Loop: Header=BB4_1218 Depth=2
	s_or_b64 exec, exec, s[88:89]
	s_and_b64 s[78:79], exec, s[90:91]
	s_or_b64 s[72:73], s[78:79], s[72:73]
	s_andn2_b64 s[74:75], s[74:75], exec
	s_and_b64 s[78:79], s[76:77], exec
	s_or_b64 s[74:75], s[74:75], s[78:79]
	s_andn2_b64 exec, exec, s[72:73]
	s_cbranch_execz .LBB4_1222
.LBB4_1218:                             ;   Parent Loop BB4_1119 Depth=1
                                        ; =>  This Inner Loop Header: Depth=2
	s_add_i32 s92, s92, 1
	s_cmpk_lg_i32 s92, 0x2710
	s_cselect_b64 s[78:79], -1, 0
	s_and_b64 vcc, exec, s[78:79]
	s_cbranch_vccz .LBB4_1220
; %bb.1219:                             ;   in Loop: Header=BB4_1218 Depth=2
	s_mov_b64 s[90:91], -1
	s_or_b64 s[76:77], s[76:77], exec
	s_and_saveexec_b64 s[88:89], s[78:79]
	s_cbranch_execz .LBB4_1217
	s_branch .LBB4_1221
.LBB4_1220:                             ;   in Loop: Header=BB4_1218 Depth=2
	s_trap 2
	ds_read_b64 v[0:1], v0
	s_andn2_b64 s[78:79], s[78:79], exec
	s_mov_b32 s92, 0
	s_waitcnt lgkmcnt(0)
	flat_load_dword v0, v[0:1] glc
	s_waitcnt vmcnt(0) lgkmcnt(0)
	buffer_wbinvl1_vol
	v_cmp_eq_u32_e32 vcc, 0, v0
	s_and_b64 s[88:89], vcc, exec
	s_or_b64 s[78:79], s[78:79], s[88:89]
	s_mov_b64 s[90:91], -1
	s_or_b64 s[76:77], s[76:77], exec
	s_and_saveexec_b64 s[88:89], s[78:79]
	s_cbranch_execz .LBB4_1217
.LBB4_1221:                             ;   in Loop: Header=BB4_1218 Depth=2
	s_sleep 1
	s_trap 2
	ds_read_b64 v[0:1], v0
	s_waitcnt lgkmcnt(0)
	s_andn2_b64 s[76:77], s[76:77], exec
	v_cmp_ge_u64_e32 vcc, v[0:1], v[36:37]
	s_orn2_b64 s[90:91], vcc, exec
	s_branch .LBB4_1217
.LBB4_1222:                             ;   in Loop: Header=BB4_1119 Depth=1
	s_or_b64 exec, exec, s[72:73]
	s_and_saveexec_b64 s[72:73], s[74:75]
	s_xor_b64 s[72:73], exec, s[72:73]
	s_cbranch_execz .LBB4_1224
; %bb.1223:                             ;   in Loop: Header=BB4_1119 Depth=1
	ds_write_b32 v0, v30
	s_trap 2
.LBB4_1224:                             ;   in Loop: Header=BB4_1119 Depth=1
	s_or_b64 exec, exec, s[62:63]
	;;#ASMSTART
	s_wakeup
	;;#ASMEND
.LBB4_1225:                             ;   in Loop: Header=BB4_1119 Depth=1
	s_or_b64 exec, exec, s[60:61]
.LBB4_1226:                             ;   in Loop: Header=BB4_1119 Depth=1
	s_andn2_saveexec_b64 s[58:59], s[58:59]
	s_cbranch_execz .LBB4_1228
; %bb.1227:                             ;   in Loop: Header=BB4_1119 Depth=1
	s_waitcnt vmcnt(0) lgkmcnt(0)
	buffer_wbinvl1_vol
	s_barrier
.LBB4_1228:                             ;   in Loop: Header=BB4_1119 Depth=1
	s_or_b64 exec, exec, s[58:59]
.LBB4_1229:                             ;   in Loop: Header=BB4_1119 Depth=1
	s_or_b64 exec, exec, s[56:57]
	v_and_b32_e32 v0, 16, v60
	v_cmp_ne_u32_e32 vcc, 0, v0
	s_and_b64 s[56:57], vcc, s[20:21]
	s_and_saveexec_b64 s[20:21], s[56:57]
	s_cbranch_execz .LBB4_1231
; %bb.1230:                             ;   in Loop: Header=BB4_1119 Depth=1
	s_waitcnt vmcnt(0) lgkmcnt(0)
	buffer_wbinvl1_vol
.LBB4_1231:                             ;   in Loop: Header=BB4_1119 Depth=1
	s_or_b64 exec, exec, s[20:21]
	v_cmp_ne_u32_e32 vcc, 0, v0
	s_and_saveexec_b64 s[20:21], vcc
	s_cbranch_execz .LBB4_1235
; %bb.1232:                             ;   in Loop: Header=BB4_1119 Depth=1
	s_and_saveexec_b64 s[56:57], s[18:19]
	s_cbranch_execz .LBB4_1234
; %bb.1233:                             ;   in Loop: Header=BB4_1119 Depth=1
	buffer_load_dword v0, off, s[0:3], s33 offset:60 ; 4-byte Folded Reload
	buffer_load_dword v1, off, s[0:3], s33 offset:64 ; 4-byte Folded Reload
	s_waitcnt vmcnt(0)
	flat_store_dword v[0:1], v30
.LBB4_1234:                             ;   in Loop: Header=BB4_1119 Depth=1
	s_or_b64 exec, exec, s[56:57]
	v_add_co_u32_e32 v8, vcc, 1, v8
	v_addc_co_u32_e32 v9, vcc, 0, v9, vcc
	flat_store_dwordx2 v[32:33], v[8:9]
.LBB4_1235:                             ;   in Loop: Header=BB4_1119 Depth=1
	s_or_b64 exec, exec, s[20:21]
	v_mov_b32_e32 v0, v61
.LBB4_1236:                             ;   in Loop: Header=BB4_1119 Depth=1
	s_or_b64 exec, exec, s[46:47]
	s_and_saveexec_b64 s[46:47], s[44:45]
	s_cbranch_execz .LBB4_1118
; %bb.1237:                             ;   in Loop: Header=BB4_1119 Depth=1
	v_sub_u32_e32 v0, v14, v0
	v_min_i32_e32 v14, v61, v0
	v_and_b32_e32 v0, 8, v60
	v_cmp_ne_u32_e32 vcc, 0, v0
	s_and_saveexec_b64 s[44:45], vcc
	s_cbranch_execz .LBB4_1259
; %bb.1238:                             ;   in Loop: Header=BB4_1119 Depth=1
	s_waitcnt vmcnt(0)
	v_add_co_u32_e32 v0, vcc, 8, v38
	v_addc_co_u32_e32 v1, vcc, 0, v39, vcc
	s_waitcnt lgkmcnt(0)
	v_add_co_u32_e32 v16, vcc, 1, v8
	v_addc_co_u32_e32 v17, vcc, 0, v9, vcc
	v_cmp_lt_u64_e32 vcc, v[0:1], v[16:17]
	s_and_saveexec_b64 s[56:57], vcc
	s_cbranch_execz .LBB4_1250
; %bb.1239:                             ;   in Loop: Header=BB4_1119 Depth=1
	v_and_b32_e32 v0, 64, v60
	s_mov_b32 s92, 0
	v_cmp_eq_u32_e32 vcc, 0, v0
	s_mov_b64 s[58:59], 0
                                        ; implicit-def: $sgpr60_sgpr61
                                        ; implicit-def: $sgpr62_sgpr63
                                        ; implicit-def: $sgpr72_sgpr73
	s_branch .LBB4_1243
.LBB4_1240:                             ;   in Loop: Header=BB4_1243 Depth=2
	s_waitcnt vmcnt(0) lgkmcnt(0)
	v_add_co_u32_e64 v9, s[20:21], 8, v38
	v_addc_co_u32_e64 v10, s[20:21], 0, v39, s[20:21]
	v_cmp_ge_u64_e64 s[20:21], v[9:10], v[16:17]
	s_or_b64 s[78:79], s[78:79], exec
	s_orn2_b64 s[76:77], s[20:21], exec
.LBB4_1241:                             ;   in Loop: Header=BB4_1243 Depth=2
	s_or_b64 exec, exec, s[90:91]
	s_andn2_b64 s[20:21], s[72:73], exec
	s_and_b64 s[72:73], s[78:79], exec
	s_or_b64 s[72:73], s[20:21], s[72:73]
	s_andn2_b64 s[20:21], s[62:63], exec
	s_and_b64 s[62:63], s[76:77], exec
	s_or_b64 s[62:63], s[20:21], s[62:63]
.LBB4_1242:                             ;   in Loop: Header=BB4_1243 Depth=2
	s_or_b64 exec, exec, s[74:75]
	s_and_b64 s[20:21], exec, s[62:63]
	s_or_b64 s[58:59], s[20:21], s[58:59]
	s_andn2_b64 s[20:21], s[60:61], exec
	s_and_b64 s[60:61], s[72:73], exec
	s_or_b64 s[60:61], s[20:21], s[60:61]
	s_andn2_b64 exec, exec, s[58:59]
	s_cbranch_execz .LBB4_1247
.LBB4_1243:                             ;   Parent Loop BB4_1119 Depth=1
                                        ; =>  This Inner Loop Header: Depth=2
	s_sleep 1
	s_waitcnt vmcnt(0) lgkmcnt(0)
	flat_load_dwordx2 v[38:39], v[32:33] glc
	s_or_b64 s[72:73], s[72:73], exec
	s_or_b64 s[62:63], s[62:63], exec
                                        ; implicit-def: $vgpr0
	s_and_saveexec_b64 s[74:75], vcc
	s_cbranch_execz .LBB4_1242
; %bb.1244:                             ;   in Loop: Header=BB4_1243 Depth=2
	s_cmpk_lt_i32 s92, 0x270f
	s_cselect_b64 s[88:89], -1, 0
	s_cmpk_gt_i32 s92, 0x270e
	s_mov_b64 s[76:77], -1
	s_cbranch_scc0 .LBB4_1246
; %bb.1245:                             ;   in Loop: Header=BB4_1243 Depth=2
	s_trap 2
	ds_read_b64 v[0:1], v0
	s_andn2_b64 s[88:89], s[88:89], exec
	s_mov_b32 s92, 0
	s_mov_b64 s[78:79], 0
	s_waitcnt vmcnt(0) lgkmcnt(0)
	flat_load_dword v0, v[0:1] glc
	s_waitcnt vmcnt(0) lgkmcnt(0)
	buffer_wbinvl1_vol
	v_cmp_eq_u32_e64 s[20:21], 0, v0
	s_and_b64 s[20:21], s[20:21], exec
	s_or_b64 s[88:89], s[88:89], s[20:21]
	s_and_saveexec_b64 s[90:91], s[88:89]
	s_cbranch_execz .LBB4_1241
	s_branch .LBB4_1240
.LBB4_1246:                             ;   in Loop: Header=BB4_1243 Depth=2
	s_add_i32 s92, s92, 1
	s_mov_b64 s[78:79], -1
                                        ; implicit-def: $vgpr0
	s_and_saveexec_b64 s[90:91], s[88:89]
	s_cbranch_execz .LBB4_1241
	s_branch .LBB4_1240
.LBB4_1247:                             ;   in Loop: Header=BB4_1119 Depth=1
	s_or_b64 exec, exec, s[58:59]
	s_xor_b64 s[20:21], s[60:61], -1
	s_and_saveexec_b64 s[58:59], s[20:21]
	s_xor_b64 s[20:21], exec, s[58:59]
	s_cbranch_execz .LBB4_1249
; %bb.1248:                             ;   in Loop: Header=BB4_1119 Depth=1
	v_or_b32_e32 v60, 64, v60
	s_waitcnt lgkmcnt(0)
	ds_write_b32 v0, v0
	s_trap 2
.LBB4_1249:                             ;   in Loop: Header=BB4_1119 Depth=1
	s_or_b64 exec, exec, s[20:21]
.LBB4_1250:                             ;   in Loop: Header=BB4_1119 Depth=1
	s_or_b64 exec, exec, s[56:57]
	v_and_b32_e32 v0, 0x100, v60
	v_cmp_ne_u32_e32 vcc, 0, v0
	v_and_b32_e32 v0, 7, v8
	s_mov_b64 s[20:21], -1
	;;#ASMSTART
	s_wakeup
	;;#ASMEND
                                        ; implicit-def: $vgpr8_vgpr9
	s_and_saveexec_b64 s[56:57], vcc
	s_cbranch_execz .LBB4_1254
; %bb.1251:                             ;   in Loop: Header=BB4_1119 Depth=1
	v_mad_u64_u32 v[18:19], s[20:21], v0, 24, v[6:7]
	v_ashrrev_i32_e32 v15, 31, v14
	v_lshlrev_b64 v[8:9], 1, v[14:15]
	flat_load_dword v1, v[18:19]
	s_waitcnt vmcnt(0) lgkmcnt(0)
	v_cmp_ne_u32_e32 vcc, 1, v1
	v_cmp_eq_u32_e64 s[20:21], 1, v1
	flat_store_dwordx2 v[18:19], v[8:9] offset:8
                                        ; implicit-def: $vgpr8_vgpr9
	s_and_saveexec_b64 s[58:59], s[20:21]
	s_cbranch_execz .LBB4_1253
; %bb.1252:                             ;   in Loop: Header=BB4_1119 Depth=1
	flat_load_dword v8, v[18:19] offset:4 glc
	s_waitcnt vmcnt(0) lgkmcnt(0)
	v_ashrrev_i32_e32 v9, 31, v8
	v_lshrrev_b64 v[8:9], 1, v[8:9]
.LBB4_1253:                             ;   in Loop: Header=BB4_1119 Depth=1
	s_or_b64 exec, exec, s[58:59]
	s_orn2_b64 s[20:21], vcc, exec
.LBB4_1254:                             ;   in Loop: Header=BB4_1119 Depth=1
	s_or_b64 exec, exec, s[56:57]
	s_and_saveexec_b64 s[56:57], s[20:21]
; %bb.1255:                             ;   in Loop: Header=BB4_1119 Depth=1
	v_mad_i64_i32 v[8:9], s[20:21], v0, v58, 0
; %bb.1256:                             ;   in Loop: Header=BB4_1119 Depth=1
	s_or_b64 exec, exec, s[56:57]
	v_lshlrev_b64 v[0:1], 1, v[8:9]
	v_add_co_u32_e32 v0, vcc, v34, v0
	v_addc_co_u32_e32 v1, vcc, v35, v1, vcc
	ds_write_b64 v0, v[0:1] offset:784
	v_and_b32_e32 v0, 0x2000, v60
	v_cmp_ne_u32_e32 vcc, 0, v0
	s_and_saveexec_b64 s[20:21], vcc
	s_cbranch_execz .LBB4_1258
; %bb.1257:                             ;   in Loop: Header=BB4_1119 Depth=1
	ds_read_b64 v[0:1], v0 offset:872
	s_waitcnt lgkmcnt(0)
	v_add_co_u32_e32 v0, vcc, 1, v0
	v_addc_co_u32_e32 v1, vcc, 0, v1, vcc
	ds_write_b64 v0, v[0:1] offset:872
.LBB4_1258:                             ;   in Loop: Header=BB4_1119 Depth=1
	s_or_b64 exec, exec, s[20:21]
	v_mov_b32_e32 v8, v16
	v_mov_b32_e32 v9, v17
.LBB4_1259:                             ;   in Loop: Header=BB4_1119 Depth=1
	s_or_b64 exec, exec, s[44:45]
	s_and_saveexec_b64 s[20:21], s[10:11]
	s_cbranch_execz .LBB4_1278
; %bb.1260:                             ;   in Loop: Header=BB4_1119 Depth=1
	s_and_saveexec_b64 s[44:45], s[26:27]
	s_xor_b64 s[44:45], exec, s[44:45]
	s_cbranch_execz .LBB4_1275
; %bb.1261:                             ;   in Loop: Header=BB4_1119 Depth=1
	s_and_saveexec_b64 s[56:57], s[12:13]
	s_cbranch_execz .LBB4_1274
; %bb.1262:                             ;   in Loop: Header=BB4_1119 Depth=1
	s_mov_b64 s[60:61], exec
	v_mbcnt_lo_u32_b32 v0, s60, 0
	v_mbcnt_hi_u32_b32 v0, s61, v0
	v_cmp_eq_u32_e32 vcc, 0, v0
	s_waitcnt vmcnt(0) lgkmcnt(0)
	buffer_wbinvl1_vol
	s_and_saveexec_b64 s[58:59], vcc
	s_cbranch_execz .LBB4_1264
; %bb.1263:                             ;   in Loop: Header=BB4_1119 Depth=1
	s_bcnt1_i32_b64 s60, s[60:61]
	v_mov_b32_e32 v10, s60
	ds_add_u64 v0, v[10:11]
	s_trap 2
.LBB4_1264:                             ;   in Loop: Header=BB4_1119 Depth=1
	s_or_b64 exec, exec, s[58:59]
	s_trap 2
	ds_read_b64 v[0:1], v0
	s_waitcnt lgkmcnt(0)
	v_add_co_u32_e32 v36, vcc, v36, v2
	v_addc_co_u32_e32 v37, vcc, 0, v37, vcc
	v_cmp_lt_u64_e32 vcc, v[0:1], v[36:37]
	s_and_saveexec_b64 s[58:59], vcc
	s_cbranch_execz .LBB4_1273
; %bb.1265:                             ;   in Loop: Header=BB4_1119 Depth=1
	s_mov_b32 s88, 0
	s_mov_b64 s[60:61], 0
                                        ; implicit-def: $sgpr62_sgpr63
                                        ; implicit-def: $sgpr72_sgpr73
	s_branch .LBB4_1267
.LBB4_1266:                             ;   in Loop: Header=BB4_1267 Depth=2
	s_or_b64 exec, exec, s[76:77]
	s_and_b64 s[74:75], exec, s[78:79]
	s_or_b64 s[60:61], s[74:75], s[60:61]
	s_andn2_b64 s[62:63], s[62:63], exec
	s_and_b64 s[74:75], s[72:73], exec
	s_or_b64 s[62:63], s[62:63], s[74:75]
	s_andn2_b64 exec, exec, s[60:61]
	s_cbranch_execz .LBB4_1271
.LBB4_1267:                             ;   Parent Loop BB4_1119 Depth=1
                                        ; =>  This Inner Loop Header: Depth=2
	s_add_i32 s88, s88, 1
	s_cmpk_lg_i32 s88, 0x2710
	s_cselect_b64 s[74:75], -1, 0
	s_and_b64 vcc, exec, s[74:75]
	s_cbranch_vccz .LBB4_1269
; %bb.1268:                             ;   in Loop: Header=BB4_1267 Depth=2
	s_mov_b64 s[78:79], -1
	s_or_b64 s[72:73], s[72:73], exec
	s_and_saveexec_b64 s[76:77], s[74:75]
	s_cbranch_execz .LBB4_1266
	s_branch .LBB4_1270
.LBB4_1269:                             ;   in Loop: Header=BB4_1267 Depth=2
	s_trap 2
	ds_read_b64 v[0:1], v0
	s_andn2_b64 s[74:75], s[74:75], exec
	s_mov_b32 s88, 0
	s_waitcnt lgkmcnt(0)
	flat_load_dword v0, v[0:1] glc
	s_waitcnt vmcnt(0) lgkmcnt(0)
	buffer_wbinvl1_vol
	v_cmp_eq_u32_e32 vcc, 0, v0
	s_and_b64 s[76:77], vcc, exec
	s_or_b64 s[74:75], s[74:75], s[76:77]
	s_mov_b64 s[78:79], -1
	s_or_b64 s[72:73], s[72:73], exec
	s_and_saveexec_b64 s[76:77], s[74:75]
	s_cbranch_execz .LBB4_1266
.LBB4_1270:                             ;   in Loop: Header=BB4_1267 Depth=2
	s_sleep 1
	s_trap 2
	ds_read_b64 v[0:1], v0
	s_waitcnt lgkmcnt(0)
	s_andn2_b64 s[72:73], s[72:73], exec
	v_cmp_ge_u64_e32 vcc, v[0:1], v[36:37]
	s_orn2_b64 s[78:79], vcc, exec
	s_branch .LBB4_1266
.LBB4_1271:                             ;   in Loop: Header=BB4_1119 Depth=1
	s_or_b64 exec, exec, s[60:61]
	s_and_saveexec_b64 s[60:61], s[62:63]
	s_xor_b64 s[60:61], exec, s[60:61]
	s_cbranch_execz .LBB4_1273
; %bb.1272:                             ;   in Loop: Header=BB4_1119 Depth=1
	ds_write_b32 v0, v30
	s_trap 2
.LBB4_1273:                             ;   in Loop: Header=BB4_1119 Depth=1
	s_or_b64 exec, exec, s[58:59]
	;;#ASMSTART
	s_wakeup
	;;#ASMEND
.LBB4_1274:                             ;   in Loop: Header=BB4_1119 Depth=1
	s_or_b64 exec, exec, s[56:57]
.LBB4_1275:                             ;   in Loop: Header=BB4_1119 Depth=1
	s_andn2_saveexec_b64 s[44:45], s[44:45]
	s_cbranch_execz .LBB4_1277
; %bb.1276:                             ;   in Loop: Header=BB4_1119 Depth=1
	s_waitcnt vmcnt(0) lgkmcnt(0)
	buffer_wbinvl1_vol
	s_barrier
.LBB4_1277:                             ;   in Loop: Header=BB4_1119 Depth=1
	s_or_b64 exec, exec, s[44:45]
.LBB4_1278:                             ;   in Loop: Header=BB4_1119 Depth=1
	s_or_b64 exec, exec, s[20:21]
	s_trap 2
	ds_read_b32 v1, v0
	v_cmp_lt_i32_e32 vcc, 0, v14
	v_and_b32_e32 v0, 16, v60
	s_waitcnt lgkmcnt(0)
	v_readfirstlane_b32 s20, v1
	s_cmp_eq_u32 s20, 0
	s_cselect_b64 s[20:21], -1, 0
	s_and_b64 s[20:21], vcc, s[20:21]
	v_cmp_ne_u32_e32 vcc, 0, v0
	s_and_b64 s[44:45], vcc, s[20:21]
	s_and_saveexec_b64 s[20:21], s[44:45]
	s_cbranch_execz .LBB4_1280
; %bb.1279:                             ;   in Loop: Header=BB4_1119 Depth=1
	s_waitcnt vmcnt(0)
	buffer_wbinvl1_vol
.LBB4_1280:                             ;   in Loop: Header=BB4_1119 Depth=1
	s_or_b64 exec, exec, s[20:21]
	v_cmp_ne_u32_e32 vcc, 0, v0
	s_and_saveexec_b64 s[20:21], vcc
	s_cbranch_execz .LBB4_1117
; %bb.1281:                             ;   in Loop: Header=BB4_1119 Depth=1
	s_and_saveexec_b64 s[44:45], s[18:19]
	s_cbranch_execz .LBB4_1116
; %bb.1282:                             ;   in Loop: Header=BB4_1119 Depth=1
	buffer_load_dword v0, off, s[0:3], s33 offset:60 ; 4-byte Folded Reload
	buffer_load_dword v1, off, s[0:3], s33 offset:64 ; 4-byte Folded Reload
	s_waitcnt vmcnt(0)
	flat_store_dword v[0:1], v30
	s_branch .LBB4_1116
.LBB4_1283:
	s_or_b64 exec, exec, s[40:41]
	buffer_load_dword v26, off, s[0:3], s33 offset:84 ; 4-byte Folded Reload
	buffer_load_dword v27, off, s[0:3], s33 offset:88 ; 4-byte Folded Reload
.LBB4_1284:
	s_or_b64 exec, exec, s[24:25]
.LBB4_1285:
	s_or_b64 exec, exec, s[22:23]
	v_and_b32_e32 v0, 0x800, v60
	v_cmp_eq_u32_e32 vcc, 0, v0
	s_and_saveexec_b64 s[6:7], vcc
	s_cbranch_execz .LBB4_1318
; %bb.1286:
	v_and_b32_e32 v0, 48, v60
	v_cmp_ne_u32_e32 vcc, 0, v0
	s_and_saveexec_b64 s[4:5], vcc
	s_cbranch_execz .LBB4_1288
; %bb.1287:
	s_waitcnt vmcnt(0) lgkmcnt(0)
	flat_store_dwordx2 v[26:27], v[8:9] offset:104
.LBB4_1288:
	s_or_b64 exec, exec, s[4:5]
	s_movk_i32 s4, 0x88
	v_and_b32_e32 v0, 0x88, v60
	v_cmp_eq_u32_e32 vcc, s4, v0
	s_and_saveexec_b64 s[10:11], vcc
	s_cbranch_execz .LBB4_1298
; %bb.1289:
	s_waitcnt vmcnt(0) lgkmcnt(0)
	v_add_u32_e32 v0, -1, v8
	v_and_b32_e32 v0, 7, v0
	v_mad_u64_u32 v[4:5], s[4:5], v0, 24, v[6:7]
	v_and_b32_e32 v2, 64, v60
	v_cmp_eq_u32_e64 s[4:5], 0, v2
	flat_load_dwordx2 v[0:1], v[4:5] offset:8 glc
	s_waitcnt vmcnt(0)
	s_mov_b32 s22, 0
	s_waitcnt lgkmcnt(0)
	v_cmp_ne_u64_e32 vcc, -1, v[0:1]
	s_and_b64 s[4:5], vcc, s[4:5]
	s_and_b64 exec, exec, s[4:5]
	s_cbranch_execz .LBB4_1298
; %bb.1290:
	s_mov_b64 s[4:5], 0
                                        ; implicit-def: $sgpr12_sgpr13
                                        ; implicit-def: $sgpr14_sgpr15
	s_branch .LBB4_1293
.LBB4_1291:                             ;   in Loop: Header=BB4_1293 Depth=1
	flat_load_dwordx2 v[1:2], v[4:5] offset:8 glc
	s_waitcnt vmcnt(0)
	s_andn2_b64 s[14:15], s[14:15], exec
	s_waitcnt lgkmcnt(0)
	v_cmp_eq_u64_e32 vcc, -1, v[1:2]
	s_orn2_b64 s[18:19], vcc, exec
.LBB4_1292:                             ;   in Loop: Header=BB4_1293 Depth=1
	s_or_b64 exec, exec, s[20:21]
	s_and_b64 s[16:17], exec, s[18:19]
	s_or_b64 s[4:5], s[16:17], s[4:5]
	s_andn2_b64 s[12:13], s[12:13], exec
	s_and_b64 s[16:17], s[14:15], exec
	s_or_b64 s[12:13], s[12:13], s[16:17]
	s_andn2_b64 exec, exec, s[4:5]
	s_cbranch_execz .LBB4_1296
.LBB4_1293:                             ; =>This Inner Loop Header: Depth=1
	s_cmpk_lt_i32 s22, 0x270f
	s_cselect_b64 s[16:17], -1, 0
	s_and_b64 vcc, exec, s[16:17]
	s_cbranch_vccnz .LBB4_1295
; %bb.1294:                             ;   in Loop: Header=BB4_1293 Depth=1
	s_trap 2
	ds_read_b64 v[0:1], v0
	s_andn2_b64 s[16:17], s[16:17], exec
	s_mov_b32 s22, 0
	s_waitcnt lgkmcnt(0)
	flat_load_dword v0, v[0:1] glc
	s_waitcnt vmcnt(0) lgkmcnt(0)
	buffer_wbinvl1_vol
	v_cmp_eq_u32_e32 vcc, 0, v0
	s_and_b64 s[18:19], vcc, exec
	s_or_b64 s[16:17], s[16:17], s[18:19]
	s_mov_b64 s[18:19], -1
	s_or_b64 s[14:15], s[14:15], exec
	s_and_saveexec_b64 s[20:21], s[16:17]
	s_cbranch_execz .LBB4_1292
	s_branch .LBB4_1291
.LBB4_1295:                             ;   in Loop: Header=BB4_1293 Depth=1
	s_add_i32 s22, s22, 1
                                        ; implicit-def: $vgpr0
	s_mov_b64 s[18:19], -1
	s_or_b64 s[14:15], s[14:15], exec
	s_and_saveexec_b64 s[20:21], s[16:17]
	s_cbranch_execz .LBB4_1292
	s_branch .LBB4_1291
.LBB4_1296:
	s_or_b64 exec, exec, s[4:5]
	s_and_saveexec_b64 s[4:5], s[12:13]
	s_xor_b64 s[4:5], exec, s[4:5]
	s_cbranch_execz .LBB4_1298
; %bb.1297:
	ds_write_b32 v0, v0
	s_trap 2
.LBB4_1298:
	s_or_b64 exec, exec, s[10:11]
	v_and_b32_e32 v0, 0x2000, v60
	v_cmp_ne_u32_e32 vcc, 0, v0
	s_and_saveexec_b64 s[4:5], vcc
	s_cbranch_execz .LBB4_1300
; %bb.1299:
	s_trap 2
	ds_read_b64 v[0:1], v0
	buffer_load_dword v2, off, s[0:3], s33 offset:104 ; 4-byte Folded Reload
	buffer_load_dword v3, off, s[0:3], s33 offset:108 ; 4-byte Folded Reload
	s_waitcnt vmcnt(0) lgkmcnt(0)
	flat_store_dwordx2 v[2:3], v[0:1] offset:16
.LBB4_1300:
	s_or_b64 exec, exec, s[4:5]
	s_waitcnt vmcnt(0)
	v_cmp_ne_u32_e32 vcc, 64, v59
	s_and_b64 exec, exec, vcc
	s_cbranch_execz .LBB4_1318
; %bb.1301:
	v_cmp_ne_u32_sdwa s[4:5], v59, v62 src0_sel:DWORD src1_sel:WORD_0
	s_and_saveexec_b64 s[10:11], s[4:5]
	s_xor_b64 s[4:5], exec, s[10:11]
	s_cbranch_execz .LBB4_1316
; %bb.1302:
	v_and_b32_e32 v0, 63, v31
	v_cmp_eq_u32_e32 vcc, 0, v0
	s_and_saveexec_b64 s[10:11], vcc
	s_cbranch_execz .LBB4_1315
; %bb.1303:
	s_mov_b64 s[14:15], exec
	v_mbcnt_lo_u32_b32 v0, s14, 0
	v_mbcnt_hi_u32_b32 v0, s15, v0
	v_cmp_eq_u32_e32 vcc, 0, v0
	s_waitcnt lgkmcnt(0)
	buffer_wbinvl1_vol
	s_and_saveexec_b64 s[12:13], vcc
	s_cbranch_execz .LBB4_1305
; %bb.1304:
	s_bcnt1_i32_b64 s14, s[14:15]
	v_mov_b32_e32 v0, s14
	v_mov_b32_e32 v1, 0
	ds_add_u64 v0, v[0:1]
	s_trap 2
.LBB4_1305:
	s_or_b64 exec, exec, s[12:13]
	v_lshrrev_b32_e32 v0, 6, v59
	s_trap 2
	ds_read_b64 v[2:3], v0
	s_waitcnt lgkmcnt(0)
	v_add_co_u32_e32 v0, vcc, v36, v0
	v_addc_co_u32_e32 v1, vcc, 0, v37, vcc
	v_cmp_lt_u64_e32 vcc, v[2:3], v[0:1]
	s_and_saveexec_b64 s[12:13], vcc
	s_cbranch_execz .LBB4_1314
; %bb.1306:
	s_mov_b32 s26, 0
	s_mov_b64 s[14:15], 0
                                        ; implicit-def: $sgpr16_sgpr17
                                        ; implicit-def: $sgpr18_sgpr19
	s_branch .LBB4_1308
.LBB4_1307:                             ;   in Loop: Header=BB4_1308 Depth=1
	s_or_b64 exec, exec, s[22:23]
	s_and_b64 s[20:21], exec, s[24:25]
	s_or_b64 s[14:15], s[20:21], s[14:15]
	s_andn2_b64 s[16:17], s[16:17], exec
	s_and_b64 s[20:21], s[18:19], exec
	s_or_b64 s[16:17], s[16:17], s[20:21]
	s_andn2_b64 exec, exec, s[14:15]
	s_cbranch_execz .LBB4_1312
.LBB4_1308:                             ; =>This Inner Loop Header: Depth=1
	s_add_i32 s26, s26, 1
	s_cmpk_lg_i32 s26, 0x2710
	s_cselect_b64 s[20:21], -1, 0
	s_and_b64 vcc, exec, s[20:21]
	s_cbranch_vccz .LBB4_1310
; %bb.1309:                             ;   in Loop: Header=BB4_1308 Depth=1
	s_mov_b64 s[24:25], -1
	s_or_b64 s[18:19], s[18:19], exec
	s_and_saveexec_b64 s[22:23], s[20:21]
	s_cbranch_execz .LBB4_1307
	s_branch .LBB4_1311
.LBB4_1310:                             ;   in Loop: Header=BB4_1308 Depth=1
	s_trap 2
	ds_read_b64 v[2:3], v0
	s_andn2_b64 s[20:21], s[20:21], exec
	s_mov_b32 s26, 0
	s_waitcnt lgkmcnt(0)
	flat_load_dword v2, v[2:3] glc
	s_waitcnt vmcnt(0) lgkmcnt(0)
	buffer_wbinvl1_vol
	v_cmp_eq_u32_e32 vcc, 0, v2
	s_and_b64 s[22:23], vcc, exec
	s_or_b64 s[20:21], s[20:21], s[22:23]
	s_mov_b64 s[24:25], -1
	s_or_b64 s[18:19], s[18:19], exec
	s_and_saveexec_b64 s[22:23], s[20:21]
	s_cbranch_execz .LBB4_1307
.LBB4_1311:                             ;   in Loop: Header=BB4_1308 Depth=1
	s_sleep 1
	s_trap 2
	ds_read_b64 v[2:3], v0
	s_waitcnt lgkmcnt(0)
	s_andn2_b64 s[18:19], s[18:19], exec
	v_cmp_ge_u64_e32 vcc, v[2:3], v[0:1]
	s_orn2_b64 s[24:25], vcc, exec
	s_branch .LBB4_1307
.LBB4_1312:
	s_or_b64 exec, exec, s[14:15]
	s_and_saveexec_b64 s[14:15], s[16:17]
	s_xor_b64 s[14:15], exec, s[14:15]
	s_cbranch_execz .LBB4_1314
; %bb.1313:
	v_mov_b32_e32 v0, 1
	ds_write_b32 v0, v0
	s_trap 2
.LBB4_1314:
	s_or_b64 exec, exec, s[12:13]
	;;#ASMSTART
	s_wakeup
	;;#ASMEND
.LBB4_1315:
	s_or_b64 exec, exec, s[10:11]
.LBB4_1316:
	s_andn2_saveexec_b64 s[4:5], s[4:5]
	s_cbranch_execz .LBB4_1318
; %bb.1317:
	s_waitcnt lgkmcnt(0)
	buffer_wbinvl1_vol
	s_barrier
.LBB4_1318:
	s_or_b64 exec, exec, s[6:7]
.LBB4_1319:
	s_andn2_saveexec_b64 s[26:27], s[28:29]
	s_cbranch_execz .LBB4_1321
; %bb.1320:
	s_getpc_b64 s[4:5]
	s_add_u32 s4, s4, __PRETTY_FUNCTION__._ZN10PrimitivesI6__half10FuncMinMaxIS0_E12FanSymmetricILi1EELi0E11ProtoSimpleILi1ELi1ELi0ELi2ELi0ELi0EELi0ELb0ELi0ELi0ELi0EEC2EiiPKiS9_PKvPvmhhhP15ncclDevWorkCollP14ncclDevWorkP2pii@rel32@lo+4
	s_addc_u32 s5, s5, __PRETTY_FUNCTION__._ZN10PrimitivesI6__half10FuncMinMaxIS0_E12FanSymmetricILi1EELi0E11ProtoSimpleILi1ELi1ELi0ELi2ELi0ELi0EELi0ELb0ELi0ELi0ELi0EEC2EiiPKiS9_PKvPvmhhhP15ncclDevWorkCollP14ncclDevWorkP2pii@rel32@hi+12
	s_getpc_b64 s[6:7]
	s_add_u32 s6, s6, __assert_fail@rel32@lo+4
	s_addc_u32 s7, s7, __assert_fail@rel32@hi+12
	v_mov_b32_e32 v0, s4
	v_mov_b32_e32 v1, s5
	s_swappc_b64 s[30:31], s[6:7]
	; divergent unreachable
.LBB4_1321:
	s_or_b64 exec, exec, s[26:27]
	buffer_load_dword v62, off, s[0:3], s33 ; 4-byte Folded Reload
	buffer_load_dword v61, off, s[0:3], s33 offset:4 ; 4-byte Folded Reload
	buffer_load_dword v60, off, s[0:3], s33 offset:8 ; 4-byte Folded Reload
	;; [unrolled: 1-line block ×14, first 2 shown]
	v_readlane_b32 s30, v63, 6
	v_readlane_b32 s31, v63, 7
	;; [unrolled: 1-line block ×8, first 2 shown]
	s_mov_b32 s32, s33
	v_readlane_b32 s4, v63, 8
	s_or_saveexec_b64 s[6:7], -1
	buffer_load_dword v63, off, s[0:3], s33 offset:128 ; 4-byte Folded Reload
	s_mov_b64 exec, s[6:7]
	s_mov_b32 s33, s4
	s_waitcnt vmcnt(0) lgkmcnt(0)
	s_setpc_b64 s[30:31]
.Lfunc_end4:
	.size	_ZN12_GLOBAL__N_17runRingI6__half10FuncMinMaxIS1_E11ProtoSimpleILi1ELi1ELi0ELi2ELi0ELi0EELi0ELi2ELi0EEEviiP15ncclDevWorkColl, .Lfunc_end4-_ZN12_GLOBAL__N_17runRingI6__half10FuncMinMaxIS1_E11ProtoSimpleILi1ELi1ELi0ELi2ELi0ELi0EELi0ELi2ELi0EEEviiP15ncclDevWorkColl
                                        ; -- End function
	.set .L_ZN12_GLOBAL__N_17runRingI6__half10FuncMinMaxIS1_E11ProtoSimpleILi1ELi1ELi0ELi2ELi0ELi0EELi0ELi2ELi0EEEviiP15ncclDevWorkColl.num_vgpr, max(64, .L__assert_fail.num_vgpr)
	.set .L_ZN12_GLOBAL__N_17runRingI6__half10FuncMinMaxIS1_E11ProtoSimpleILi1ELi1ELi0ELi2ELi0ELi0EELi0ELi2ELi0EEEviiP15ncclDevWorkColl.num_agpr, max(0, .L__assert_fail.num_agpr)
	.set .L_ZN12_GLOBAL__N_17runRingI6__half10FuncMinMaxIS1_E11ProtoSimpleILi1ELi1ELi0ELi2ELi0ELi0EELi0ELi2ELi0EEEviiP15ncclDevWorkColl.numbered_sgpr, max(96, .L__assert_fail.numbered_sgpr)
	.set .L_ZN12_GLOBAL__N_17runRingI6__half10FuncMinMaxIS1_E11ProtoSimpleILi1ELi1ELi0ELi2ELi0ELi0EELi0ELi2ELi0EEEviiP15ncclDevWorkColl.num_named_barrier, max(0, .L__assert_fail.num_named_barrier)
	.set .L_ZN12_GLOBAL__N_17runRingI6__half10FuncMinMaxIS1_E11ProtoSimpleILi1ELi1ELi0ELi2ELi0ELi0EELi0ELi2ELi0EEEviiP15ncclDevWorkColl.private_seg_size, 144+max(.L__assert_fail.private_seg_size)
	.set .L_ZN12_GLOBAL__N_17runRingI6__half10FuncMinMaxIS1_E11ProtoSimpleILi1ELi1ELi0ELi2ELi0ELi0EELi0ELi2ELi0EEEviiP15ncclDevWorkColl.uses_vcc, or(1, .L__assert_fail.uses_vcc)
	.set .L_ZN12_GLOBAL__N_17runRingI6__half10FuncMinMaxIS1_E11ProtoSimpleILi1ELi1ELi0ELi2ELi0ELi0EELi0ELi2ELi0EEEviiP15ncclDevWorkColl.uses_flat_scratch, or(0, .L__assert_fail.uses_flat_scratch)
	.set .L_ZN12_GLOBAL__N_17runRingI6__half10FuncMinMaxIS1_E11ProtoSimpleILi1ELi1ELi0ELi2ELi0ELi0EELi0ELi2ELi0EEEviiP15ncclDevWorkColl.has_dyn_sized_stack, or(0, .L__assert_fail.has_dyn_sized_stack)
	.set .L_ZN12_GLOBAL__N_17runRingI6__half10FuncMinMaxIS1_E11ProtoSimpleILi1ELi1ELi0ELi2ELi0ELi0EELi0ELi2ELi0EEEviiP15ncclDevWorkColl.has_recursion, or(1, .L__assert_fail.has_recursion)
	.set .L_ZN12_GLOBAL__N_17runRingI6__half10FuncMinMaxIS1_E11ProtoSimpleILi1ELi1ELi0ELi2ELi0ELi0EELi0ELi2ELi0EEEviiP15ncclDevWorkColl.has_indirect_call, or(0, .L__assert_fail.has_indirect_call)
	.section	.AMDGPU.csdata,"",@progbits
; Function info:
; codeLenInByte = 31264
; TotalNumSgprs: 100
; NumVgprs: 64
; ScratchSize: 208
; MemoryBound: 1
	.text
	.p2align	2                               ; -- Begin function _Z47ncclDevFunc_Reduce_RING_SIMPLE_MinMax_f16_0_0_2v
	.type	_Z47ncclDevFunc_Reduce_RING_SIMPLE_MinMax_f16_0_0_2v,@function
_Z47ncclDevFunc_Reduce_RING_SIMPLE_MinMax_f16_0_0_2v: ; @_Z47ncclDevFunc_Reduce_RING_SIMPLE_MinMax_f16_0_0_2v
; %bb.0:
	s_waitcnt vmcnt(0) expcnt(0) lgkmcnt(0)
	s_mov_b32 s4, s33
	s_mov_b32 s33, s32
	s_or_saveexec_b64 s[6:7], -1
	buffer_store_dword v43, off, s[0:3], s33 offset:16 ; 4-byte Folded Spill
	s_mov_b64 exec, s[6:7]
	v_writelane_b32 v43, s4, 14
	s_addk_i32 s32, 0x800
	buffer_store_dword v40, off, s[0:3], s33 offset:12 ; 4-byte Folded Spill
	buffer_store_dword v41, off, s[0:3], s33 offset:8 ; 4-byte Folded Spill
	;; [unrolled: 1-line block ×3, first 2 shown]
	buffer_store_dword v63, off, s[0:3], s33 ; 4-byte Folded Spill
	v_writelane_b32 v43, s34, 0
	v_writelane_b32 v43, s35, 1
	;; [unrolled: 1-line block ×14, first 2 shown]
	s_trap 2
	ds_read_b32 v0, v0
	v_mov_b32_e32 v40, v31
	v_and_b32_e32 v41, 0x3ff, v40
	s_mov_b32 s50, s12
	s_mov_b64 s[48:49], s[8:9]
	s_waitcnt lgkmcnt(0)
	v_cmp_lt_i32_e32 vcc, v41, v0
	s_and_saveexec_b64 s[4:5], vcc
	s_cbranch_execz .LBB5_5
; %bb.1:
	s_load_dword s6, s[48:49], 0x0
	v_mov_b32_e32 v1, 0
	s_mov_b32 s10, 0
	v_mov_b32_e32 v4, v41
                                        ; implicit-def: $vgpr3
	s_waitcnt lgkmcnt(0)
	s_cmp_lt_u32 s50, s6
	s_cselect_b32 s6, 12, 18
	s_add_u32 s6, s48, s6
	s_addc_u32 s7, s49, 0
	global_load_ushort v1, v1, s[6:7]
	s_trap 2
	ds_read_b32 v2, v0
	s_mov_b64 s[6:7], 0
	s_waitcnt vmcnt(0) lgkmcnt(0)
	v_mul_lo_u32 v2, v2, v1
	s_branch .LBB5_3
.LBB5_2:                                ;   in Loop: Header=BB5_3 Depth=1
	s_or_b64 exec, exec, s[8:9]
	v_add_u32_e32 v4, v4, v1
	v_cmp_ge_i32_e32 vcc, v4, v0
	s_or_b64 s[6:7], vcc, s[6:7]
	v_add_u32_e32 v3, v3, v2
	s_andn2_b64 exec, exec, s[6:7]
	s_cbranch_execz .LBB5_5
.LBB5_3:                                ; =>This Inner Loop Header: Depth=1
	ds_read_b32 v5, v3
	s_waitcnt lgkmcnt(0)
	v_and_b32_e32 v5, 0x1000000, v5
	v_cmp_ne_u32_e32 vcc, 0, v5
	s_and_saveexec_b64 s[8:9], vcc
	s_cbranch_execz .LBB5_2
; %bb.4:                                ;   in Loop: Header=BB5_3 Depth=1
	ds_read_b64 v[5:6], v3 offset:104
	s_waitcnt lgkmcnt(0)
	flat_load_ushort v5, v[5:6]
	v_mov_b32_e32 v6, s10
	s_waitcnt vmcnt(0) lgkmcnt(0)
	v_and_b32_e32 v5, 0xffff, v5
	ds_write_b64 v3, v[5:6] offset:104
	s_branch .LBB5_2
.LBB5_5:
	s_or_b64 exec, exec, s[4:5]
	s_waitcnt vmcnt(0) lgkmcnt(0)
	s_barrier
	s_trap 2
	ds_read_b32 v0, v0
	s_waitcnt lgkmcnt(0)
	v_cmp_gt_i32_e32 vcc, 1, v0
	s_cbranch_vccnz .LBB5_13
; %bb.6:
	s_mov_b32 s51, 0
	v_mov_b32_e32 v42, 6
	s_branch .LBB5_8
.LBB5_7:                                ;   in Loop: Header=BB5_8 Depth=1
	s_or_b64 exec, exec, s[52:53]
	s_trap 2
	ds_read_b32 v0, v0
	s_add_i32 s51, s51, 1
	s_waitcnt lgkmcnt(0)
	v_cmp_lt_i32_e32 vcc, s51, v0
	s_cbranch_vccz .LBB5_13
.LBB5_8:                                ; =>This Inner Loop Header: Depth=1
	s_trap 2
	ds_read_b32 v0, v0
	s_cmp_eq_u32 s51, 0
	s_cbranch_scc1 .LBB5_11
; %bb.9:                                ;   in Loop: Header=BB5_8 Depth=1
	s_trap 2
	s_waitcnt lgkmcnt(0)
	ds_read_b32 v1, v0
	s_waitcnt lgkmcnt(0)
	v_xor_b32_e32 v1, v1, v0
	v_and_b32_e32 v1, 0xff0000, v1
	v_cmp_eq_u32_e32 vcc, 0, v1
	s_cbranch_vccnz .LBB5_11
; %bb.10:                               ;   in Loop: Header=BB5_8 Depth=1
	s_barrier
	ds_read_b32 v0, v0
.LBB5_11:                               ;   in Loop: Header=BB5_8 Depth=1
	s_waitcnt lgkmcnt(0)
	v_lshlrev_b32_sdwa v1, v42, v0 dst_sel:DWORD dst_unused:UNUSED_PAD src0_sel:DWORD src1_sel:BYTE_2
	v_cmp_lt_u32_e32 vcc, v41, v1
	s_and_saveexec_b64 s[52:53], vcc
	s_cbranch_execz .LBB5_7
; %bb.12:                               ;   in Loop: Header=BB5_8 Depth=1
	s_mov_b64 s[4:5], src_shared_base
	s_getpc_b64 s[6:7]
	s_add_u32 s6, s6, _ZN12_GLOBAL__N_17runRingI6__half10FuncMinMaxIS1_E11ProtoSimpleILi1ELi1ELi0ELi2ELi0ELi0EELi0ELi2ELi0EEEviiP15ncclDevWorkColl@rel32@lo+4
	s_addc_u32 s7, s7, _ZN12_GLOBAL__N_17runRingI6__half10FuncMinMaxIS1_E11ProtoSimpleILi1ELi1ELi0ELi2ELi0ELi0EELi0ELi2ELi0EEEviiP15ncclDevWorkColl@rel32@hi+12
	s_mov_b64 s[8:9], s[48:49]
	s_mov_b32 s12, s50
	v_mov_b32_e32 v31, v40
	v_mov_b32_e32 v0, v41
	;; [unrolled: 1-line block ×3, first 2 shown]
	s_swappc_b64 s[30:31], s[6:7]
	s_branch .LBB5_7
.LBB5_13:
	buffer_load_dword v63, off, s[0:3], s33 ; 4-byte Folded Reload
	buffer_load_dword v42, off, s[0:3], s33 offset:4 ; 4-byte Folded Reload
	buffer_load_dword v41, off, s[0:3], s33 offset:8 ; 4-byte Folded Reload
	buffer_load_dword v40, off, s[0:3], s33 offset:12 ; 4-byte Folded Reload
	v_readlane_b32 s30, v43, 12
	v_readlane_b32 s31, v43, 13
	;; [unrolled: 1-line block ×14, first 2 shown]
	s_mov_b32 s32, s33
	v_readlane_b32 s4, v43, 14
	s_or_saveexec_b64 s[6:7], -1
	buffer_load_dword v43, off, s[0:3], s33 offset:16 ; 4-byte Folded Reload
	s_mov_b64 exec, s[6:7]
	s_mov_b32 s33, s4
	s_waitcnt vmcnt(0)
	s_setpc_b64 s[30:31]
.Lfunc_end5:
	.size	_Z47ncclDevFunc_Reduce_RING_SIMPLE_MinMax_f16_0_0_2v, .Lfunc_end5-_Z47ncclDevFunc_Reduce_RING_SIMPLE_MinMax_f16_0_0_2v
                                        ; -- End function
	.set .L_Z47ncclDevFunc_Reduce_RING_SIMPLE_MinMax_f16_0_0_2v.num_vgpr, max(64, .L_ZN12_GLOBAL__N_17runRingI6__half10FuncMinMaxIS1_E11ProtoSimpleILi1ELi1ELi0ELi2ELi0ELi0EELi0ELi2ELi0EEEviiP15ncclDevWorkColl.num_vgpr)
	.set .L_Z47ncclDevFunc_Reduce_RING_SIMPLE_MinMax_f16_0_0_2v.num_agpr, max(0, .L_ZN12_GLOBAL__N_17runRingI6__half10FuncMinMaxIS1_E11ProtoSimpleILi1ELi1ELi0ELi2ELi0ELi0EELi0ELi2ELi0EEEviiP15ncclDevWorkColl.num_agpr)
	.set .L_Z47ncclDevFunc_Reduce_RING_SIMPLE_MinMax_f16_0_0_2v.numbered_sgpr, max(54, .L_ZN12_GLOBAL__N_17runRingI6__half10FuncMinMaxIS1_E11ProtoSimpleILi1ELi1ELi0ELi2ELi0ELi0EELi0ELi2ELi0EEEviiP15ncclDevWorkColl.numbered_sgpr)
	.set .L_Z47ncclDevFunc_Reduce_RING_SIMPLE_MinMax_f16_0_0_2v.num_named_barrier, max(0, .L_ZN12_GLOBAL__N_17runRingI6__half10FuncMinMaxIS1_E11ProtoSimpleILi1ELi1ELi0ELi2ELi0ELi0EELi0ELi2ELi0EEEviiP15ncclDevWorkColl.num_named_barrier)
	.set .L_Z47ncclDevFunc_Reduce_RING_SIMPLE_MinMax_f16_0_0_2v.private_seg_size, 32+max(.L_ZN12_GLOBAL__N_17runRingI6__half10FuncMinMaxIS1_E11ProtoSimpleILi1ELi1ELi0ELi2ELi0ELi0EELi0ELi2ELi0EEEviiP15ncclDevWorkColl.private_seg_size)
	.set .L_Z47ncclDevFunc_Reduce_RING_SIMPLE_MinMax_f16_0_0_2v.uses_vcc, or(1, .L_ZN12_GLOBAL__N_17runRingI6__half10FuncMinMaxIS1_E11ProtoSimpleILi1ELi1ELi0ELi2ELi0ELi0EELi0ELi2ELi0EEEviiP15ncclDevWorkColl.uses_vcc)
	.set .L_Z47ncclDevFunc_Reduce_RING_SIMPLE_MinMax_f16_0_0_2v.uses_flat_scratch, or(0, .L_ZN12_GLOBAL__N_17runRingI6__half10FuncMinMaxIS1_E11ProtoSimpleILi1ELi1ELi0ELi2ELi0ELi0EELi0ELi2ELi0EEEviiP15ncclDevWorkColl.uses_flat_scratch)
	.set .L_Z47ncclDevFunc_Reduce_RING_SIMPLE_MinMax_f16_0_0_2v.has_dyn_sized_stack, or(0, .L_ZN12_GLOBAL__N_17runRingI6__half10FuncMinMaxIS1_E11ProtoSimpleILi1ELi1ELi0ELi2ELi0ELi0EELi0ELi2ELi0EEEviiP15ncclDevWorkColl.has_dyn_sized_stack)
	.set .L_Z47ncclDevFunc_Reduce_RING_SIMPLE_MinMax_f16_0_0_2v.has_recursion, or(1, .L_ZN12_GLOBAL__N_17runRingI6__half10FuncMinMaxIS1_E11ProtoSimpleILi1ELi1ELi0ELi2ELi0ELi0EELi0ELi2ELi0EEEviiP15ncclDevWorkColl.has_recursion)
	.set .L_Z47ncclDevFunc_Reduce_RING_SIMPLE_MinMax_f16_0_0_2v.has_indirect_call, or(0, .L_ZN12_GLOBAL__N_17runRingI6__half10FuncMinMaxIS1_E11ProtoSimpleILi1ELi1ELi0ELi2ELi0ELi0EELi0ELi2ELi0EEEviiP15ncclDevWorkColl.has_indirect_call)
	.section	.AMDGPU.csdata,"",@progbits
; Function info:
; codeLenInByte = 832
; TotalNumSgprs: 100
; NumVgprs: 64
; ScratchSize: 240
; MemoryBound: 0
	.text
	.p2align	2                               ; -- Begin function _ZN12_GLOBAL__N_17runRingI6__half10FuncMinMaxIS1_E11ProtoSimpleILi1ELi1ELi0ELi4ELi0ELi0EELi0ELi4ELi0EEEviiP15ncclDevWorkColl
	.type	_ZN12_GLOBAL__N_17runRingI6__half10FuncMinMaxIS1_E11ProtoSimpleILi1ELi1ELi0ELi4ELi0ELi0EELi0ELi4ELi0EEEviiP15ncclDevWorkColl,@function
_ZN12_GLOBAL__N_17runRingI6__half10FuncMinMaxIS1_E11ProtoSimpleILi1ELi1ELi0ELi4ELi0ELi0EELi0ELi4ELi0EEEviiP15ncclDevWorkColl: ; @_ZN12_GLOBAL__N_17runRingI6__half10FuncMinMaxIS1_E11ProtoSimpleILi1ELi1ELi0ELi4ELi0ELi0EELi0ELi4ELi0EEEviiP15ncclDevWorkColl
; %bb.0:
	s_waitcnt vmcnt(0) expcnt(0) lgkmcnt(0)
	s_mov_b32 s4, s33
	s_mov_b32 s33, s32
	s_or_saveexec_b64 s[6:7], -1
	buffer_store_dword v63, off, s[0:3], s33 offset:236 ; 4-byte Folded Spill
	s_mov_b64 exec, s[6:7]
	v_writelane_b32 v63, s4, 9
	s_addk_i32 s32, 0x4000
	buffer_store_dword v40, off, s[0:3], s33 offset:56 ; 4-byte Folded Spill
	buffer_store_dword v41, off, s[0:3], s33 offset:52 ; 4-byte Folded Spill
	;; [unrolled: 1-line block ×14, first 2 shown]
	buffer_store_dword v62, off, s[0:3], s33 ; 4-byte Folded Spill
	v_writelane_b32 v63, s34, 0
	v_writelane_b32 v63, s35, 1
	;; [unrolled: 1-line block ×9, first 2 shown]
	v_mov_b32_e32 v62, v1
	v_mov_b32_e32 v43, v0
	s_trap 2
	ds_read_b64 v[0:1], v0
                                        ; implicit-def: $vgpr16_vgpr17
                                        ; implicit-def: $vgpr36_vgpr37
                                        ; implicit-def: $vgpr48_vgpr49
	s_waitcnt lgkmcnt(0)
	v_ashrrev_i32_e32 v6, 31, v1
	v_mov_b32_e32 v5, v1
	v_lshlrev_b64 v[5:6], 2, v[5:6]
	ds_read_b32 v4, v0
	v_add_co_u32_e32 v5, vcc, v0, v5
	v_addc_co_u32_e32 v1, vcc, v1, v6, vcc
	v_add_co_u32_e32 v5, vcc, -4, v5
	flat_load_ushort v15, v[2:3] offset:8
	flat_load_dwordx2 v[8:9], v[2:3]
	v_addc_co_u32_e32 v6, vcc, -1, v1, vcc
	flat_load_dword v22, v[5:6]
	s_waitcnt vmcnt(0) lgkmcnt(0)
	v_mov_b32_e32 v14, v9
	v_cmp_ne_u32_sdwa s[4:5], v4, v8 src0_sel:DWORD src1_sel:BYTE_0
	s_and_saveexec_b64 s[6:7], s[4:5]
	s_xor_b64 s[4:5], exec, s[6:7]
	s_cbranch_execz .LBB6_6
; %bb.1:
	v_not_b32_sdwa v1, v8 dst_sel:DWORD dst_unused:UNUSED_PAD src0_sel:BYTE_0
	v_cmp_ne_u32_sdwa s[6:7], v4, v8 src0_sel:DWORD src1_sel:BYTE_1
                                        ; implicit-def: $vgpr16_vgpr17
                                        ; implicit-def: $vgpr36_vgpr37
                                        ; implicit-def: $vgpr48_vgpr49
	s_and_saveexec_b64 s[10:11], s[6:7]
	s_xor_b64 s[6:7], exec, s[10:11]
	s_cbranch_execz .LBB6_3
; %bb.2:
	flat_load_dwordx4 v[5:8], v[2:3] offset:72
	flat_load_dwordx2 v[9:10], v[2:3] offset:96
	v_add_u32_e32 v1, v4, v1
	v_ashrrev_i32_e32 v4, 31, v1
	s_waitcnt vmcnt(0) lgkmcnt(0)
	v_mul_lo_u32 v4, v7, v4
	v_mad_u64_u32 v[48:49], s[10:11], v7, v1, v[5:6]
	v_mul_lo_u32 v1, v8, v1
	v_mov_b32_e32 v37, v8
	v_lshrrev_b64 v[16:17], 13, v[9:10]
	v_mov_b32_e32 v36, v7
	v_add3_u32 v49, v1, v49, v4
                                        ; implicit-def: $vgpr8
                                        ; implicit-def: $vgpr1
.LBB6_3:
	s_andn2_saveexec_b64 s[6:7], s[6:7]
	s_cbranch_execz .LBB6_5
; %bb.4:
	flat_load_dwordx4 v[4:7], v[2:3] offset:72
	flat_load_dwordx4 v[36:39], v[2:3] offset:88
	v_add_u32_sdwa v1, v8, v1 dst_sel:DWORD dst_unused:UNUSED_PAD src0_sel:BYTE_1 src1_sel:DWORD
	v_ashrrev_i32_e32 v8, 31, v1
	s_waitcnt vmcnt(0) lgkmcnt(0)
	v_mul_lo_u32 v8, v6, v8
	v_mad_u64_u32 v[48:49], s[10:11], v6, v1, v[4:5]
	v_mul_lo_u32 v1, v7, v1
	v_lshrrev_b32_e32 v16, 2, v39
	v_add3_u32 v49, v1, v49, v8
.LBB6_5:
	s_or_b64 exec, exec, s[6:7]
.LBB6_6:
	s_andn2_saveexec_b64 s[4:5], s[4:5]
	s_cbranch_execz .LBB6_8
; %bb.7:
	flat_load_dwordx2 v[4:5], v[2:3] offset:96
	flat_load_dwordx2 v[36:37], v[2:3] offset:72
	v_mov_b32_e32 v48, 0
	v_mov_b32_e32 v49, 0
	s_waitcnt vmcnt(0) lgkmcnt(0)
	v_lshlrev_b64 v[16:17], 8, v[4:5]
.LBB6_8:
	s_or_b64 exec, exec, s[4:5]
	s_trap 2
	ds_read_b64 v[4:5], v0
	s_waitcnt lgkmcnt(0)
	v_cmp_ne_u32_e32 vcc, -1, v4
	v_cndmask_b32_e64 v21, 0, 1, vcc
	v_cmp_ne_u32_e32 vcc, -1, v5
	v_addc_co_u32_e64 v1, s[4:5], 0, v21, vcc
	v_lshlrev_b32_e32 v4, 1, v1
	v_cmp_le_u32_e64 s[4:5], v4, v62
	s_and_saveexec_b64 s[6:7], s[4:5]
	s_xor_b64 s[28:29], exec, s[6:7]
	s_cbranch_execz .LBB6_1895
; %bb.9:
	flat_load_dwordx4 v[10:13], v[2:3] offset:16
	flat_load_dwordx2 v[17:18], v[2:3] offset:104
	s_trap 2
	s_load_dword s4, s[8:9], 0x0
	v_mov_b32_e32 v2, 0
	v_mov_b32_e32 v30, 4
	s_waitcnt lgkmcnt(0)
	s_cmp_lt_u32 s12, s4
	s_cselect_b32 s4, 12, 18
	s_add_u32 s4, s8, s4
	s_addc_u32 s5, s9, 0
	global_load_ushort v56, v2, s[4:5]
	ds_read_b32 v2, v0
	v_cmp_ge_u32_e64 s[4:5], v43, v21
	s_waitcnt lgkmcnt(0)
	v_readfirstlane_b32 s12, v2
	s_and_saveexec_b64 s[6:7], s[4:5]
	s_cbranch_execz .LBB6_19
; %bb.10:
	v_cmp_ge_u32_e64 s[4:5], v43, v1
                                        ; implicit-def: $vgpr30
	s_and_saveexec_b64 s[10:11], s[4:5]
	s_xor_b64 s[4:5], exec, s[10:11]
	s_cbranch_execz .LBB6_16
; %bb.11:
	v_cndmask_b32_e64 v2, 0, 1, vcc
	v_sub_u32_e32 v2, v62, v2
	v_cmp_ge_u32_e32 vcc, v43, v2
	s_and_saveexec_b64 s[10:11], vcc
	s_xor_b64 s[10:11], exec, s[10:11]
; %bb.12:
                                        ; implicit-def: $vgpr1
; %bb.13:
	s_or_saveexec_b64 s[10:11], s[10:11]
	v_mov_b32_e32 v30, 16
	s_xor_b64 exec, exec, s[10:11]
; %bb.14:
	v_sub_u32_e32 v1, v62, v1
	v_cmp_lt_i32_e32 vcc, v43, v1
	v_cndmask_b32_e64 v30, 32, 0, vcc
; %bb.15:
	s_or_b64 exec, exec, s[10:11]
.LBB6_16:
	s_andn2_saveexec_b64 s[4:5], s[4:5]
; %bb.17:
	v_mov_b32_e32 v30, 8
; %bb.18:
	s_or_b64 exec, exec, s[4:5]
.LBB6_19:
	s_or_b64 exec, exec, s[6:7]
	v_and_b32_e32 v1, 36, v30
	v_cmp_ne_u32_e32 vcc, 0, v1
	v_mov_b32_e32 v1, -1
	s_and_saveexec_b64 s[4:5], vcc
	s_cbranch_execz .LBB6_21
; %bb.20:
	s_trap 2
	ds_read_b32 v1, v0
.LBB6_21:
	s_or_b64 exec, exec, s[4:5]
	v_and_b32_e32 v2, 24, v30
	v_cmp_ne_u32_e64 s[4:5], 0, v2
	s_and_saveexec_b64 s[6:7], s[4:5]
	s_cbranch_execz .LBB6_23
; %bb.22:
	s_trap 2
	s_waitcnt lgkmcnt(0)
	ds_read_b32 v1, v0
.LBB6_23:
	s_or_b64 exec, exec, s[6:7]
	v_lshrrev_b64 v[2:3], 31, v[14:15]
	v_mov_b32_e32 v54, 0
	v_mov_b32_e32 v50, 0
	;; [unrolled: 1-line block ×3, first 2 shown]
	v_and_b32_e32 v3, 3, v2
	v_mov_b32_e32 v51, 0
	s_waitcnt lgkmcnt(0)
	v_ashrrev_i32_e32 v2, 31, v1
                                        ; implicit-def: $vgpr4_vgpr5
                                        ; kill: killed $vgpr4_vgpr5
                                        ; implicit-def: $vgpr42
                                        ; implicit-def: $vgpr46_vgpr47
                                        ; implicit-def: $vgpr4_vgpr5
                                        ; kill: killed $vgpr4_vgpr5
                                        ; implicit-def: $vgpr40_vgpr41
	s_and_saveexec_b64 s[4:5], vcc
	s_cbranch_execz .LBB6_33
; %bb.24:
	s_trap 2
	ds_read_b64 v[4:5], v0
	v_lshlrev_b64 v[6:7], 3, v[1:2]
	s_movk_i32 s6, 0xa8
	s_waitcnt lgkmcnt(0)
	v_add_co_u32_e32 v4, vcc, v4, v6
	v_addc_co_u32_e32 v5, vcc, v5, v7, vcc
	flat_load_dwordx2 v[4:5], v[4:5]
	v_and_b32_e32 v6, 0xffff, v3
	s_waitcnt vmcnt(0) lgkmcnt(0)
	v_mad_u64_u32 v[19:20], s[6:7], v6, s6, v[4:5]
	flat_load_dword v4, v[19:20] offset:640
	s_waitcnt vmcnt(0) lgkmcnt(0)
	v_cmp_eq_u32_e32 vcc, 1, v4
                                        ; implicit-def: $vgpr4_vgpr5
                                        ; kill: killed $vgpr4_vgpr5
	s_and_saveexec_b64 s[6:7], vcc
	s_cbranch_execz .LBB6_26
; %bb.25:
	flat_load_dwordx2 v[6:7], v[19:20] offset:648
	v_or_b32_e32 v30, 0x2000, v30
	s_waitcnt vmcnt(0) lgkmcnt(0)
	flat_load_dwordx2 v[4:5], v[6:7]
	s_trap 2
	s_waitcnt vmcnt(0) lgkmcnt(0)
	ds_write_b64 v0, v[4:5]
	flat_load_dwordx2 v[4:5], v[6:7] offset:8
	s_waitcnt vmcnt(0) lgkmcnt(0)
	ds_write_b64 v0, v[4:5]
	buffer_store_dword v6, off, s[0:3], s33 offset:188 ; 4-byte Folded Spill
	s_nop 0
	buffer_store_dword v7, off, s[0:3], s33 offset:192 ; 4-byte Folded Spill
	flat_load_dwordx2 v[4:5], v[6:7] offset:16
	s_waitcnt vmcnt(0) lgkmcnt(0)
	ds_write_b64 v0, v[4:5]
.LBB6_26:
	s_or_b64 exec, exec, s[6:7]
	flat_load_dwordx2 v[52:53], v[19:20] offset:608
	v_and_b32_e32 v4, 32, v30
	v_cmp_ne_u32_e32 vcc, 0, v4
                                        ; implicit-def: $vgpr40_vgpr41
	s_and_saveexec_b64 s[6:7], vcc
	s_cbranch_execz .LBB6_28
; %bb.27:
	flat_load_dwordx2 v[40:41], v[19:20] offset:560
	s_waitcnt vmcnt(0) lgkmcnt(0)
	flat_store_dwordx2 v[40:41], v[52:53]
.LBB6_28:
	s_or_b64 exec, exec, s[6:7]
	v_add_co_u32_e32 v54, vcc, 0x1f8, v19
	v_addc_co_u32_e32 v55, vcc, 0, v20, vcc
	v_and_b32_e32 v4, 4, v30
	v_mov_b32_e32 v50, 0
	v_mov_b32_e32 v51, 0
	v_cmp_ne_u32_e32 vcc, 0, v4
                                        ; implicit-def: $vgpr42
                                        ; implicit-def: $vgpr46_vgpr47
                                        ; implicit-def: $vgpr4_vgpr5
                                        ; kill: killed $vgpr4_vgpr5
	s_and_saveexec_b64 s[6:7], vcc
	s_cbranch_execz .LBB6_32
; %bb.29:
	v_and_b32_e32 v4, 0x800, v30
	v_cmp_eq_u32_e32 vcc, 0, v4
	s_and_saveexec_b64 s[10:11], vcc
	s_cbranch_execz .LBB6_31
; %bb.30:
	s_trap 2
	ds_write_b64 v0, v[54:55]
.LBB6_31:
	s_or_b64 exec, exec, s[10:11]
	flat_load_dwordx2 v[40:41], v[19:20] offset:552
	s_waitcnt vmcnt(0) lgkmcnt(0)
	flat_load_dwordx2 v[46:47], v[40:41] glc
	flat_load_dword v4, v[19:20] offset:576
	flat_load_dwordx2 v[50:51], v[19:20] offset:600
	flat_load_dwordx2 v[5:6], v[19:20] offset:520
	s_waitcnt vmcnt(0) lgkmcnt(0)
	buffer_store_dword v5, off, s[0:3], s33 offset:72 ; 4-byte Folded Spill
	s_nop 0
	buffer_store_dword v6, off, s[0:3], s33 offset:76 ; 4-byte Folded Spill
	v_cmp_eq_u64_e32 vcc, 0, v[50:51]
	v_or_b32_e32 v5, 0x100, v30
	v_ashrrev_i32_e32 v42, 1, v4
	v_cndmask_b32_e32 v30, v5, v30, vcc
.LBB6_32:
	s_or_b64 exec, exec, s[6:7]
.LBB6_33:
	s_or_b64 exec, exec, s[4:5]
	v_and_b32_e32 v4, 24, v30
	v_cmp_ne_u32_e32 vcc, 0, v4
                                        ; implicit-def: $vgpr4_vgpr5
                                        ; kill: killed $vgpr4_vgpr5
	s_and_saveexec_b64 s[4:5], vcc
	s_cbranch_execz .LBB6_41
; %bb.34:
	s_trap 2
	ds_read_b64 v[4:5], v0
	v_lshlrev_b64 v[1:2], 3, v[1:2]
	v_and_b32_e32 v3, 0xffff, v3
	s_movk_i32 s6, 0xa8
	s_waitcnt lgkmcnt(0)
	v_add_co_u32_e32 v1, vcc, v4, v1
	v_addc_co_u32_e32 v2, vcc, v5, v2, vcc
	flat_load_dwordx2 v[1:2], v[1:2]
	s_waitcnt vmcnt(0) lgkmcnt(0)
	v_mad_u64_u32 v[54:55], s[6:7], v3, s6, v[1:2]
	v_or_b32_e32 v1, 0x100, v30
	flat_load_dwordx4 v[50:53], v[54:55] offset:96
	s_waitcnt vmcnt(0) lgkmcnt(0)
	v_cmp_eq_u64_e32 vcc, 0, v[50:51]
	v_cndmask_b32_e32 v30, v1, v30, vcc
	v_and_b32_e32 v1, 16, v30
	v_cmp_ne_u32_e32 vcc, 0, v1
                                        ; implicit-def: $vgpr1_vgpr2
                                        ; kill: killed $vgpr1_vgpr2
	s_and_saveexec_b64 s[6:7], vcc
	s_cbranch_execz .LBB6_36
; %bb.35:
	flat_load_dwordx2 v[40:41], v[54:55] offset:48
	flat_load_dwordx2 v[1:2], v[54:55] offset:120
	s_waitcnt vmcnt(0) lgkmcnt(0)
	buffer_store_dword v1, off, s[0:3], s33 offset:64 ; 4-byte Folded Spill
	s_nop 0
	buffer_store_dword v2, off, s[0:3], s33 offset:68 ; 4-byte Folded Spill
	flat_load_dwordx2 v[1:2], v[54:55] offset:16
	s_waitcnt vmcnt(0) lgkmcnt(0)
	buffer_store_dword v1, off, s[0:3], s33 offset:72 ; 4-byte Folded Spill
	s_nop 0
	buffer_store_dword v2, off, s[0:3], s33 offset:76 ; 4-byte Folded Spill
.LBB6_36:
	s_or_b64 exec, exec, s[6:7]
	v_and_b32_e32 v1, 8, v30
	v_cmp_ne_u32_e32 vcc, 0, v1
	s_and_saveexec_b64 s[6:7], vcc
	s_cbranch_execz .LBB6_40
; %bb.37:
	v_and_b32_e32 v1, 0x800, v30
	v_cmp_eq_u32_e32 vcc, 0, v1
	s_and_saveexec_b64 s[10:11], vcc
	s_cbranch_execz .LBB6_39
; %bb.38:
	s_trap 2
	ds_write_b64 v0, v[54:55]
.LBB6_39:
	s_or_b64 exec, exec, s[10:11]
	flat_load_dwordx2 v[40:41], v[54:55] offset:56
	s_waitcnt vmcnt(0) lgkmcnt(0)
	flat_load_dwordx2 v[46:47], v[40:41] glc
	flat_load_dword v1, v[54:55] offset:72
	flat_load_dwordx2 v[2:3], v[54:55] offset:16
	s_waitcnt vmcnt(0) lgkmcnt(0)
	buffer_store_dword v2, off, s[0:3], s33 offset:72 ; 4-byte Folded Spill
	s_nop 0
	buffer_store_dword v3, off, s[0:3], s33 offset:76 ; 4-byte Folded Spill
	v_ashrrev_i32_e32 v42, 1, v1
.LBB6_40:
	s_or_b64 exec, exec, s[6:7]
.LBB6_41:
	s_or_b64 exec, exec, s[4:5]
	v_cmp_eq_u32_e64 s[4:5], 0, v43
	s_and_saveexec_b64 s[6:7], s[4:5]
	s_cbranch_execz .LBB6_43
; %bb.42:
	s_waitcnt vmcnt(0)
	v_mov_b32_e32 v1, v12
	v_mov_b32_e32 v2, v13
	v_mov_b32_e32 v3, v10
	v_mov_b32_e32 v4, v11
	ds_write2_b64 v0, v[1:2], v[3:4] offset1:1
	v_mov_b32_e32 v1, 0
	v_mov_b32_e32 v2, v1
	s_trap 2
	ds_write_b64 v0, v[1:2]
	ds_write_b64 v0, v[17:18]
.LBB6_43:
	s_or_b64 exec, exec, s[6:7]
	s_ashr_i32 s6, s12, 31
	s_lshr_b32 s6, s6, 29
	s_add_i32 s12, s12, s6
	v_bfe_u32 v1, v14, 1, 30
	v_and_b32_e32 v33, 0x1fffff00, v16
	v_mov_b32_e32 v34, 0
	s_ashr_i32 s30, s12, 4
	v_cmp_ne_u32_e32 vcc, v22, v1
                                        ; implicit-def: $vgpr22_vgpr23
	s_and_saveexec_b64 s[6:7], vcc
	s_xor_b64 s[40:41], exec, s[6:7]
	s_cbranch_execz .LBB6_1689
; %bb.44:
	v_cmp_ne_u32_e32 vcc, v0, v1
                                        ; implicit-def: $vgpr22_vgpr23
	s_and_saveexec_b64 s[6:7], vcc
	s_xor_b64 s[42:43], exec, s[6:7]
	s_cbranch_execz .LBB6_872
; %bb.45:
	v_mov_b32_e32 v22, 0
	v_cmp_ne_u64_e32 vcc, 0, v[36:37]
	v_mov_b32_e32 v23, 0
	s_and_saveexec_b64 s[44:45], vcc
	s_cbranch_execz .LBB6_871
; %bb.46:
	v_and_b32_e32 v0, 63, v31
	v_cmp_eq_u32_e64 s[12:13], 0, v0
	v_lshrrev_b32_e32 v0, 6, v43
	buffer_store_dword v54, off, s[0:3], s33 offset:148 ; 4-byte Folded Spill
	s_nop 0
	buffer_store_dword v55, off, s[0:3], s33 offset:152 ; 4-byte Folded Spill
	s_trap 2
	v_and_b32_e32 v1, 63, v43
	buffer_store_dword v0, off, s[0:3], s33 offset:180 ; 4-byte Folded Spill
	v_lshlrev_b32_e32 v0, 12, v0
	v_lshrrev_b32_e32 v44, 6, v62
	v_lshl_or_b32 v0, v1, 4, v0
	buffer_store_dword v0, off, s[0:3], s33 offset:224 ; 4-byte Folded Spill
	v_lshlrev_b32_e32 v0, 12, v44
	s_lshr_b32 s6, s30, 27
	buffer_store_dword v0, off, s[0:3], s33 offset:60 ; 4-byte Folded Spill
	v_lshlrev_b32_e32 v0, 10, v44
	s_add_i32 s6, s30, s6
	s_waitcnt vmcnt(0)
	buffer_store_dword v56, off, s[0:3], s33 offset:144 ; 4-byte Folded Spill
	buffer_store_dword v31, off, s[0:3], s33 offset:196 ; 4-byte Folded Spill
	;; [unrolled: 1-line block ×5, first 2 shown]
	v_lshlrev_b32_e32 v0, 1, v62
	s_ashr_i32 s31, s6, 5
	v_cmp_ge_u32_e64 s[6:7], v43, v62
	v_cmp_eq_u32_e32 vcc, 64, v62
	v_cmp_ne_u32_e64 s[10:11], 64, v62
	v_cmp_ne_u32_sdwa s[46:47], v62, v56 src0_sel:DWORD src1_sel:WORD_0
	v_cmp_le_u32_e64 s[14:15], v1, v21
	v_cmp_lt_u32_e64 s[16:17], v1, v21
	v_and_b32_e32 v62, 0x7f80, v0
	buffer_load_dword v0, off, s[0:3], s33 offset:64 ; 4-byte Folded Reload
	buffer_load_dword v1, off, s[0:3], s33 offset:68 ; 4-byte Folded Reload
	v_mov_b32_e32 v2, 0
	v_mov_b32_e32 v3, 0
	buffer_store_dword v43, off, s[0:3], s33 offset:140 ; 4-byte Folded Spill
	v_mov_b32_e32 v22, 0
	v_ashrrev_i32_e32 v35, 31, v42
	v_mov_b32_e32 v57, 0
	v_lshlrev_b32_e32 v61, 11, v44
	s_mov_b64 s[56:57], 0
	v_mov_b32_e32 v23, 0
	s_movk_i32 s34, 0x108
	v_mov_b32_e32 v20, 1
	s_xor_b64 s[58:59], vcc, -1
	s_movk_i32 s35, 0x7c00
	s_movk_i32 s36, 0x7c01
	s_mov_b32 s37, 0x7060302
	s_mov_b32 s38, 0x5040100
	s_movk_i32 s39, 0xfc00
	v_mov_b32_e32 v38, 0xc8
	v_mov_b32_e32 v39, 0x90
	;; [unrolled: 1-line block ×3, first 2 shown]
	s_waitcnt vmcnt(0)
	v_cmp_eq_u64_e64 s[18:19], 0, v[0:1]
	v_mov_b32_e32 v0, v36
	v_mov_b32_e32 v1, v37
	buffer_store_dword v0, off, s[0:3], s33 offset:112 ; 4-byte Folded Spill
	s_nop 0
	buffer_store_dword v1, off, s[0:3], s33 offset:116 ; 4-byte Folded Spill
	buffer_store_dword v2, off, s[0:3], s33 offset:120 ; 4-byte Folded Spill
	;; [unrolled: 1-line block ×4, first 2 shown]
	s_nop 0
	buffer_store_dword v49, off, s[0:3], s33 offset:132 ; 4-byte Folded Spill
	buffer_store_dword v40, off, s[0:3], s33 offset:156 ; 4-byte Folded Spill
	s_nop 0
	buffer_store_dword v41, off, s[0:3], s33 offset:160 ; 4-byte Folded Spill
	buffer_store_dword v42, off, s[0:3], s33 offset:136 ; 4-byte Folded Spill
	buffer_load_dword v18, off, s[0:3], s33 offset:72 ; 4-byte Folded Reload
	buffer_load_dword v19, off, s[0:3], s33 offset:76 ; 4-byte Folded Reload
	s_nop 0
	buffer_store_dword v33, off, s[0:3], s33 offset:80 ; 4-byte Folded Spill
	s_nop 0
	buffer_store_dword v34, off, s[0:3], s33 offset:84 ; 4-byte Folded Spill
	buffer_store_dword v35, off, s[0:3], s33 offset:176 ; 4-byte Folded Spill
	s_branch .LBB6_49
.LBB6_47:                               ;   in Loop: Header=BB6_49 Depth=1
	s_or_b64 exec, exec, s[20:21]
.LBB6_48:                               ;   in Loop: Header=BB6_49 Depth=1
	s_or_b64 exec, exec, s[22:23]
	v_add_co_u32_e32 v2, vcc, v2, v33
	v_addc_co_u32_e32 v3, vcc, 0, v3, vcc
	v_cmp_ge_u64_e32 vcc, v[2:3], v[36:37]
	s_or_b64 s[56:57], vcc, s[56:57]
	s_andn2_b64 exec, exec, s[56:57]
	s_cbranch_execz .LBB6_870
.LBB6_49:                               ; =>This Loop Header: Depth=1
                                        ;     Child Loop BB6_58 Depth 2
                                        ;     Child Loop BB6_86 Depth 2
	;; [unrolled: 1-line block ×10, first 2 shown]
	v_sub_co_u32_e32 v0, vcc, v36, v2
	v_subb_co_u32_e32 v1, vcc, v37, v3, vcc
	v_cmp_lt_u64_e32 vcc, v[33:34], v[0:1]
	v_cndmask_b32_e64 v55, v1, 0, vcc
	v_cndmask_b32_e32 v54, v0, v33, vcc
	v_cmp_eq_u64_e32 vcc, 0, v[54:55]
	v_add_u32_e32 v0, 15, v54
	v_and_b32_e32 v0, 0x3ffffff0, v0
	s_or_b64 s[60:61], s[6:7], vcc
	v_max_i32_e32 v55, s31, v0
	s_xor_b64 s[20:21], s[60:61], -1
	v_mov_b32_e32 v0, 0
	s_and_saveexec_b64 s[62:63], s[20:21]
	s_cbranch_execz .LBB6_818
; %bb.50:                               ;   in Loop: Header=BB6_49 Depth=1
	s_and_saveexec_b64 s[20:21], s[4:5]
	s_cbranch_execz .LBB6_52
; %bb.51:                               ;   in Loop: Header=BB6_49 Depth=1
	s_trap 2
	ds_read_b64 v[0:1], v0
	v_lshlrev_b64 v[4:5], 1, v[48:49]
	v_mov_b32_e32 v58, v57
	s_waitcnt lgkmcnt(0)
	v_add_co_u32_e32 v4, vcc, v0, v4
	v_addc_co_u32_e32 v5, vcc, v1, v5, vcc
	v_lshlrev_b64 v[0:1], 1, v[2:3]
	v_add_co_u32_e32 v0, vcc, v4, v0
	v_addc_co_u32_e32 v1, vcc, v5, v1, vcc
	ds_write_b64 v0, v[0:1]
	ds_write_b64 v0, v[57:58]
.LBB6_52:                               ;   in Loop: Header=BB6_49 Depth=1
	s_or_b64 exec, exec, s[20:21]
	v_and_b32_e32 v0, 12, v30
	v_min_u32_e32 v55, v55, v54
	v_cmp_ne_u32_e32 vcc, 0, v0
	s_and_saveexec_b64 s[22:23], vcc
	s_cbranch_execz .LBB6_78
; %bb.53:                               ;   in Loop: Header=BB6_49 Depth=1
	v_and_b32_e32 v12, 8, v30
	v_add_co_u32_e32 v4, vcc, v46, v12
	v_addc_co_u32_e32 v5, vcc, 0, v47, vcc
	s_waitcnt lgkmcnt(0)
	v_add_co_u32_e32 v0, vcc, 1, v52
	v_addc_co_u32_e32 v1, vcc, 0, v53, vcc
	v_cmp_lt_u64_e32 vcc, v[4:5], v[0:1]
	s_and_saveexec_b64 s[24:25], vcc
	s_cbranch_execz .LBB6_65
; %bb.54:                               ;   in Loop: Header=BB6_49 Depth=1
	v_and_b32_e32 v4, 64, v30
	s_mov_b32 s48, 0
	v_cmp_eq_u32_e32 vcc, 0, v4
	s_mov_b64 s[26:27], 0
                                        ; implicit-def: $sgpr72_sgpr73
                                        ; implicit-def: $sgpr74_sgpr75
                                        ; implicit-def: $sgpr76_sgpr77
	s_branch .LBB6_58
.LBB6_55:                               ;   in Loop: Header=BB6_58 Depth=2
	s_waitcnt vmcnt(0) lgkmcnt(0)
	v_add_co_u32_e64 v4, s[20:21], v46, v12
	v_addc_co_u32_e64 v5, s[20:21], 0, v47, s[20:21]
	v_cmp_ge_u64_e64 s[20:21], v[4:5], v[0:1]
	s_or_b64 s[90:91], s[90:91], exec
	s_orn2_b64 s[88:89], s[20:21], exec
.LBB6_56:                               ;   in Loop: Header=BB6_58 Depth=2
	s_or_b64 exec, exec, s[94:95]
	s_andn2_b64 s[20:21], s[76:77], exec
	s_and_b64 s[76:77], s[90:91], exec
	s_or_b64 s[76:77], s[20:21], s[76:77]
	s_andn2_b64 s[20:21], s[74:75], exec
	s_and_b64 s[74:75], s[88:89], exec
	s_or_b64 s[74:75], s[20:21], s[74:75]
.LBB6_57:                               ;   in Loop: Header=BB6_58 Depth=2
	s_or_b64 exec, exec, s[78:79]
	s_and_b64 s[20:21], exec, s[74:75]
	s_or_b64 s[26:27], s[20:21], s[26:27]
	s_andn2_b64 s[20:21], s[72:73], exec
	s_and_b64 s[72:73], s[76:77], exec
	s_or_b64 s[72:73], s[20:21], s[72:73]
	s_andn2_b64 exec, exec, s[26:27]
	s_cbranch_execz .LBB6_62
.LBB6_58:                               ;   Parent Loop BB6_49 Depth=1
                                        ; =>  This Inner Loop Header: Depth=2
	s_sleep 1
	s_waitcnt vmcnt(0) lgkmcnt(0)
	flat_load_dwordx2 v[46:47], v[40:41] glc
	s_or_b64 s[76:77], s[76:77], exec
	s_or_b64 s[74:75], s[74:75], exec
                                        ; implicit-def: $vgpr9
	s_and_saveexec_b64 s[78:79], vcc
	s_cbranch_execz .LBB6_57
; %bb.59:                               ;   in Loop: Header=BB6_58 Depth=2
	s_cmpk_lt_i32 s48, 0x270f
	s_cselect_b64 s[92:93], -1, 0
	s_cmpk_gt_i32 s48, 0x270e
	s_mov_b64 s[88:89], -1
	s_cbranch_scc0 .LBB6_61
; %bb.60:                               ;   in Loop: Header=BB6_58 Depth=2
	s_trap 2
	ds_read_b64 v[4:5], v0
	s_andn2_b64 s[92:93], s[92:93], exec
	s_mov_b32 s48, 0
	s_mov_b64 s[90:91], 0
	s_waitcnt vmcnt(0) lgkmcnt(0)
	flat_load_dword v9, v[4:5] glc
	s_waitcnt vmcnt(0) lgkmcnt(0)
	buffer_wbinvl1_vol
	v_cmp_eq_u32_e64 s[20:21], 0, v9
	s_and_b64 s[20:21], s[20:21], exec
	s_or_b64 s[92:93], s[92:93], s[20:21]
	s_and_saveexec_b64 s[94:95], s[92:93]
	s_cbranch_execz .LBB6_56
	s_branch .LBB6_55
.LBB6_61:                               ;   in Loop: Header=BB6_58 Depth=2
	s_add_i32 s48, s48, 1
	s_mov_b64 s[90:91], -1
                                        ; implicit-def: $vgpr9
	s_and_saveexec_b64 s[94:95], s[92:93]
	s_cbranch_execz .LBB6_56
	s_branch .LBB6_55
.LBB6_62:                               ;   in Loop: Header=BB6_49 Depth=1
	s_or_b64 exec, exec, s[26:27]
	s_xor_b64 s[20:21], s[72:73], -1
	s_and_saveexec_b64 s[26:27], s[20:21]
	s_xor_b64 s[20:21], exec, s[26:27]
	s_cbranch_execz .LBB6_64
; %bb.63:                               ;   in Loop: Header=BB6_49 Depth=1
	v_or_b32_e32 v30, 64, v30
	s_waitcnt lgkmcnt(0)
	ds_write_b32 v0, v9
	s_trap 2
.LBB6_64:                               ;   in Loop: Header=BB6_49 Depth=1
	s_or_b64 exec, exec, s[20:21]
.LBB6_65:                               ;   in Loop: Header=BB6_49 Depth=1
	s_or_b64 exec, exec, s[24:25]
	v_and_b32_e32 v4, 0x108, v30
	v_cmp_ne_u32_e32 vcc, s34, v4
	v_and_b32_e32 v13, 7, v52
	;;#ASMSTART
	s_wakeup
	;;#ASMEND
	s_and_saveexec_b64 s[20:21], vcc
	s_xor_b64 s[20:21], exec, s[20:21]
                                        ; implicit-def: $vgpr14
; %bb.66:                               ;   in Loop: Header=BB6_49 Depth=1
	v_mov_b32_e32 v14, v57
; %bb.67:                               ;   in Loop: Header=BB6_49 Depth=1
	s_andn2_saveexec_b64 s[20:21], s[20:21]
	s_cbranch_execz .LBB6_69
; %bb.68:                               ;   in Loop: Header=BB6_49 Depth=1
	v_mad_u64_u32 v[4:5], s[24:25], v13, 24, v[50:51]
	v_mov_b32_e32 v14, v57
	v_lshlrev_b32_e32 v6, 1, v55
	v_mov_b32_e32 v7, v57
	flat_store_dwordx2 v[4:5], v[6:7] offset:8
.LBB6_69:                               ;   in Loop: Header=BB6_49 Depth=1
	s_or_b64 exec, exec, s[20:21]
	v_and_b32_e32 v4, 0x100, v30
	v_cmp_ne_u32_e32 vcc, 0, v4
	s_mov_b64 s[20:21], -1
                                        ; implicit-def: $vgpr8_vgpr9
	s_and_saveexec_b64 s[24:25], vcc
	s_cbranch_execz .LBB6_73
; %bb.70:                               ;   in Loop: Header=BB6_49 Depth=1
	v_mad_u64_u32 v[10:11], s[20:21], v13, 24, v[50:51]
                                        ; implicit-def: $vgpr8_vgpr9
	v_mov_b32_e32 v4, v11
	v_mad_u64_u32 v[4:5], s[20:21], v14, 24, v[4:5]
	v_mov_b32_e32 v11, v4
	flat_load_dword v4, v[10:11]
	s_waitcnt vmcnt(0) lgkmcnt(0)
	v_cmp_ne_u32_e32 vcc, 1, v4
	v_cmp_eq_u32_e64 s[20:21], 1, v4
	s_and_saveexec_b64 s[26:27], s[20:21]
	s_cbranch_execz .LBB6_72
; %bb.71:                               ;   in Loop: Header=BB6_49 Depth=1
	flat_load_dword v4, v[10:11] offset:4 glc
	s_waitcnt vmcnt(0) lgkmcnt(0)
	v_ashrrev_i32_e32 v5, 31, v4
	v_lshrrev_b64 v[8:9], 1, v[4:5]
.LBB6_72:                               ;   in Loop: Header=BB6_49 Depth=1
	s_or_b64 exec, exec, s[26:27]
	s_orn2_b64 s[20:21], vcc, exec
.LBB6_73:                               ;   in Loop: Header=BB6_49 Depth=1
	s_or_b64 exec, exec, s[24:25]
	s_and_saveexec_b64 s[24:25], s[20:21]
	s_cbranch_execz .LBB6_75
; %bb.74:                               ;   in Loop: Header=BB6_49 Depth=1
	s_waitcnt vmcnt(0)
	v_mul_lo_u32 v4, v14, v42
	v_mul_lo_u32 v5, v13, v35
	v_mad_u64_u32 v[8:9], s[20:21], v13, v42, 0
	v_add3_u32 v9, v9, v5, v4
.LBB6_75:                               ;   in Loop: Header=BB6_49 Depth=1
	s_or_b64 exec, exec, s[24:25]
	v_lshlrev_b64 v[4:5], 1, v[8:9]
	v_cmp_eq_u32_e32 vcc, 0, v12
	v_cndmask_b32_e32 v6, v38, v39, vcc
	s_waitcnt vmcnt(0)
	v_add_co_u32_e32 v4, vcc, v18, v4
	v_addc_co_u32_e32 v5, vcc, v19, v5, vcc
	v_add_u32_e32 v6, v0, v6
	ds_write_b64 v6, v[4:5] offset:584
	v_and_b32_e32 v4, 0x2000, v30
	v_cmp_ne_u32_e32 vcc, 0, v4
	s_and_saveexec_b64 s[20:21], vcc
	s_cbranch_execz .LBB6_77
; %bb.76:                               ;   in Loop: Header=BB6_49 Depth=1
	ds_read_b64 v[4:5], v0 offset:872
	s_waitcnt lgkmcnt(0)
	v_add_co_u32_e32 v4, vcc, 1, v4
	v_addc_co_u32_e32 v5, vcc, 0, v5, vcc
	ds_write_b64 v0, v[4:5] offset:872
.LBB6_77:                               ;   in Loop: Header=BB6_49 Depth=1
	s_or_b64 exec, exec, s[20:21]
	v_mov_b32_e32 v53, v1
	v_mov_b32_e32 v52, v0
.LBB6_78:                               ;   in Loop: Header=BB6_49 Depth=1
	s_or_b64 exec, exec, s[22:23]
	s_and_saveexec_b64 s[20:21], s[10:11]
	s_cbranch_execz .LBB6_97
; %bb.79:                               ;   in Loop: Header=BB6_49 Depth=1
	s_and_saveexec_b64 s[22:23], s[46:47]
	s_xor_b64 s[22:23], exec, s[22:23]
	s_cbranch_execz .LBB6_94
; %bb.80:                               ;   in Loop: Header=BB6_49 Depth=1
	s_and_saveexec_b64 s[24:25], s[12:13]
	s_cbranch_execz .LBB6_93
; %bb.81:                               ;   in Loop: Header=BB6_49 Depth=1
	s_mov_b64 s[72:73], exec
	v_mbcnt_lo_u32_b32 v0, s72, 0
	v_mbcnt_hi_u32_b32 v0, s73, v0
	v_cmp_eq_u32_e32 vcc, 0, v0
	s_waitcnt vmcnt(0) lgkmcnt(0)
	buffer_wbinvl1_vol
	s_and_saveexec_b64 s[26:27], vcc
	s_cbranch_execz .LBB6_83
; %bb.82:                               ;   in Loop: Header=BB6_49 Depth=1
	s_bcnt1_i32_b64 s72, s[72:73]
	v_mov_b32_e32 v0, s72
	v_mov_b32_e32 v1, v57
	ds_add_u64 v0, v[0:1]
	s_trap 2
.LBB6_83:                               ;   in Loop: Header=BB6_49 Depth=1
	s_or_b64 exec, exec, s[26:27]
	s_trap 2
	ds_read_b64 v[0:1], v0
	s_waitcnt lgkmcnt(0)
	v_add_co_u32_e32 v22, vcc, v22, v44
	v_addc_co_u32_e32 v23, vcc, 0, v23, vcc
	v_cmp_lt_u64_e32 vcc, v[0:1], v[22:23]
	s_and_saveexec_b64 s[26:27], vcc
	s_cbranch_execz .LBB6_92
; %bb.84:                               ;   in Loop: Header=BB6_49 Depth=1
	s_mov_b32 s92, 0
	s_mov_b64 s[72:73], 0
                                        ; implicit-def: $sgpr74_sgpr75
                                        ; implicit-def: $sgpr76_sgpr77
	s_branch .LBB6_86
.LBB6_85:                               ;   in Loop: Header=BB6_86 Depth=2
	s_or_b64 exec, exec, s[88:89]
	s_and_b64 s[78:79], exec, s[90:91]
	s_or_b64 s[72:73], s[78:79], s[72:73]
	s_andn2_b64 s[74:75], s[74:75], exec
	s_and_b64 s[78:79], s[76:77], exec
	s_or_b64 s[74:75], s[74:75], s[78:79]
	s_andn2_b64 exec, exec, s[72:73]
	s_cbranch_execz .LBB6_90
.LBB6_86:                               ;   Parent Loop BB6_49 Depth=1
                                        ; =>  This Inner Loop Header: Depth=2
	s_add_i32 s92, s92, 1
	s_cmpk_lg_i32 s92, 0x2710
	s_cselect_b64 s[78:79], -1, 0
	s_and_b64 vcc, exec, s[78:79]
	s_cbranch_vccz .LBB6_88
; %bb.87:                               ;   in Loop: Header=BB6_86 Depth=2
	s_mov_b64 s[90:91], -1
	s_or_b64 s[76:77], s[76:77], exec
	s_and_saveexec_b64 s[88:89], s[78:79]
	s_cbranch_execz .LBB6_85
	s_branch .LBB6_89
.LBB6_88:                               ;   in Loop: Header=BB6_86 Depth=2
	s_trap 2
	ds_read_b64 v[0:1], v0
	s_andn2_b64 s[78:79], s[78:79], exec
	s_mov_b32 s92, 0
	s_waitcnt lgkmcnt(0)
	flat_load_dword v0, v[0:1] glc
	s_waitcnt vmcnt(0) lgkmcnt(0)
	buffer_wbinvl1_vol
	v_cmp_eq_u32_e32 vcc, 0, v0
	s_and_b64 s[88:89], vcc, exec
	s_or_b64 s[78:79], s[78:79], s[88:89]
	s_mov_b64 s[90:91], -1
	s_or_b64 s[76:77], s[76:77], exec
	s_and_saveexec_b64 s[88:89], s[78:79]
	s_cbranch_execz .LBB6_85
.LBB6_89:                               ;   in Loop: Header=BB6_86 Depth=2
	s_sleep 1
	s_trap 2
	ds_read_b64 v[0:1], v0
	s_waitcnt lgkmcnt(0)
	s_andn2_b64 s[76:77], s[76:77], exec
	v_cmp_ge_u64_e32 vcc, v[0:1], v[22:23]
	s_orn2_b64 s[90:91], vcc, exec
	s_branch .LBB6_85
.LBB6_90:                               ;   in Loop: Header=BB6_49 Depth=1
	s_or_b64 exec, exec, s[72:73]
	s_and_saveexec_b64 s[72:73], s[74:75]
	s_xor_b64 s[72:73], exec, s[72:73]
	s_cbranch_execz .LBB6_92
; %bb.91:                               ;   in Loop: Header=BB6_49 Depth=1
	ds_write_b32 v0, v20
	s_trap 2
.LBB6_92:                               ;   in Loop: Header=BB6_49 Depth=1
	s_or_b64 exec, exec, s[26:27]
	;;#ASMSTART
	s_wakeup
	;;#ASMEND
.LBB6_93:                               ;   in Loop: Header=BB6_49 Depth=1
	s_or_b64 exec, exec, s[24:25]
.LBB6_94:                               ;   in Loop: Header=BB6_49 Depth=1
	s_andn2_saveexec_b64 s[22:23], s[22:23]
	s_cbranch_execz .LBB6_96
; %bb.95:                               ;   in Loop: Header=BB6_49 Depth=1
	s_waitcnt vmcnt(0) lgkmcnt(0)
	buffer_wbinvl1_vol
	s_barrier
.LBB6_96:                               ;   in Loop: Header=BB6_49 Depth=1
	s_or_b64 exec, exec, s[22:23]
.LBB6_97:                               ;   in Loop: Header=BB6_49 Depth=1
	s_or_b64 exec, exec, s[20:21]
	s_trap 2
	ds_read_b32 v0, v0
	v_and_b32_e32 v1, 0x4000, v30
	v_cmp_ne_u32_e32 vcc, 0, v1
	s_and_b64 s[22:23], s[58:59], vcc
	s_and_saveexec_b64 s[20:21], s[22:23]
	s_cbranch_execz .LBB6_116
; %bb.98:                               ;   in Loop: Header=BB6_49 Depth=1
	s_and_saveexec_b64 s[22:23], s[46:47]
	s_xor_b64 s[22:23], exec, s[22:23]
	s_cbranch_execz .LBB6_113
; %bb.99:                               ;   in Loop: Header=BB6_49 Depth=1
	s_and_saveexec_b64 s[24:25], s[12:13]
	s_cbranch_execz .LBB6_112
; %bb.100:                              ;   in Loop: Header=BB6_49 Depth=1
	s_mov_b64 s[72:73], exec
	v_mbcnt_lo_u32_b32 v1, s72, 0
	v_mbcnt_hi_u32_b32 v1, s73, v1
	v_cmp_eq_u32_e32 vcc, 0, v1
	s_waitcnt vmcnt(0) lgkmcnt(0)
	buffer_wbinvl1_vol
	s_and_saveexec_b64 s[26:27], vcc
	s_cbranch_execz .LBB6_102
; %bb.101:                              ;   in Loop: Header=BB6_49 Depth=1
	s_bcnt1_i32_b64 s72, s[72:73]
	v_mov_b32_e32 v4, s72
	v_mov_b32_e32 v5, v57
	ds_add_u64 v0, v[4:5]
	s_trap 2
.LBB6_102:                              ;   in Loop: Header=BB6_49 Depth=1
	s_or_b64 exec, exec, s[26:27]
	s_trap 2
	ds_read_b64 v[4:5], v0
	s_waitcnt lgkmcnt(0)
	v_add_co_u32_e32 v22, vcc, v22, v44
	v_addc_co_u32_e32 v23, vcc, 0, v23, vcc
	v_cmp_lt_u64_e32 vcc, v[4:5], v[22:23]
	s_and_saveexec_b64 s[26:27], vcc
	s_cbranch_execz .LBB6_111
; %bb.103:                              ;   in Loop: Header=BB6_49 Depth=1
	s_mov_b32 s92, 0
	s_mov_b64 s[72:73], 0
                                        ; implicit-def: $sgpr74_sgpr75
                                        ; implicit-def: $sgpr76_sgpr77
	s_branch .LBB6_105
.LBB6_104:                              ;   in Loop: Header=BB6_105 Depth=2
	s_or_b64 exec, exec, s[88:89]
	s_and_b64 s[78:79], exec, s[90:91]
	s_or_b64 s[72:73], s[78:79], s[72:73]
	s_andn2_b64 s[74:75], s[74:75], exec
	s_and_b64 s[78:79], s[76:77], exec
	s_or_b64 s[74:75], s[74:75], s[78:79]
	s_andn2_b64 exec, exec, s[72:73]
	s_cbranch_execz .LBB6_109
.LBB6_105:                              ;   Parent Loop BB6_49 Depth=1
                                        ; =>  This Inner Loop Header: Depth=2
	s_add_i32 s92, s92, 1
	s_cmpk_lg_i32 s92, 0x2710
	s_cselect_b64 s[78:79], -1, 0
	s_and_b64 vcc, exec, s[78:79]
	s_cbranch_vccz .LBB6_107
; %bb.106:                              ;   in Loop: Header=BB6_105 Depth=2
	s_mov_b64 s[90:91], -1
	s_or_b64 s[76:77], s[76:77], exec
	s_and_saveexec_b64 s[88:89], s[78:79]
	s_cbranch_execz .LBB6_104
	s_branch .LBB6_108
.LBB6_107:                              ;   in Loop: Header=BB6_105 Depth=2
	s_trap 2
	ds_read_b64 v[4:5], v0
	s_andn2_b64 s[78:79], s[78:79], exec
	s_mov_b32 s92, 0
	s_waitcnt lgkmcnt(0)
	flat_load_dword v1, v[4:5] glc
	s_waitcnt vmcnt(0) lgkmcnt(0)
	buffer_wbinvl1_vol
	v_cmp_eq_u32_e32 vcc, 0, v1
	s_and_b64 s[88:89], vcc, exec
	s_or_b64 s[78:79], s[78:79], s[88:89]
	s_mov_b64 s[90:91], -1
	s_or_b64 s[76:77], s[76:77], exec
	s_and_saveexec_b64 s[88:89], s[78:79]
	s_cbranch_execz .LBB6_104
.LBB6_108:                              ;   in Loop: Header=BB6_105 Depth=2
	s_sleep 1
	s_trap 2
	ds_read_b64 v[4:5], v0
	s_waitcnt lgkmcnt(0)
	s_andn2_b64 s[76:77], s[76:77], exec
	v_cmp_ge_u64_e32 vcc, v[4:5], v[22:23]
	s_orn2_b64 s[90:91], vcc, exec
	s_branch .LBB6_104
.LBB6_109:                              ;   in Loop: Header=BB6_49 Depth=1
	s_or_b64 exec, exec, s[72:73]
	s_and_saveexec_b64 s[72:73], s[74:75]
	s_xor_b64 s[72:73], exec, s[72:73]
	s_cbranch_execz .LBB6_111
; %bb.110:                              ;   in Loop: Header=BB6_49 Depth=1
	ds_write_b32 v0, v20
	s_trap 2
.LBB6_111:                              ;   in Loop: Header=BB6_49 Depth=1
	s_or_b64 exec, exec, s[26:27]
	;;#ASMSTART
	s_wakeup
	;;#ASMEND
.LBB6_112:                              ;   in Loop: Header=BB6_49 Depth=1
	s_or_b64 exec, exec, s[24:25]
.LBB6_113:                              ;   in Loop: Header=BB6_49 Depth=1
	s_andn2_saveexec_b64 s[22:23], s[22:23]
	s_cbranch_execz .LBB6_115
; %bb.114:                              ;   in Loop: Header=BB6_49 Depth=1
	s_waitcnt vmcnt(0) lgkmcnt(0)
	buffer_wbinvl1_vol
	s_barrier
.LBB6_115:                              ;   in Loop: Header=BB6_49 Depth=1
	s_or_b64 exec, exec, s[22:23]
.LBB6_116:                              ;   in Loop: Header=BB6_49 Depth=1
	s_or_b64 exec, exec, s[20:21]
	s_trap 2
	s_waitcnt lgkmcnt(0)
	ds_read_b64 v[31:32], v0
	s_waitcnt lgkmcnt(0)
	v_cmp_eq_u64_e32 vcc, 0, v[31:32]
	s_cbranch_vccnz .LBB6_124
; %bb.117:                              ;   in Loop: Header=BB6_49 Depth=1
	s_trap 2
	ds_read_b64 v[12:13], v0
	s_waitcnt lgkmcnt(0)
	v_cmp_eq_u64_e32 vcc, 0, v[12:13]
	s_cbranch_vccnz .LBB6_124
; %bb.118:                              ;   in Loop: Header=BB6_49 Depth=1
	s_trap 2
	ds_read_b64 v[4:5], v0
	s_mov_b64 s[22:23], -1
	s_waitcnt lgkmcnt(0)
	v_readfirstlane_b32 s94, v4
	s_and_saveexec_b64 s[20:21], s[14:15]
	s_cbranch_execz .LBB6_120
; %bb.119:                              ;   in Loop: Header=BB6_49 Depth=1
	ds_read_b32 v1, v0 offset:720
	s_waitcnt lgkmcnt(0)
	v_and_b32_e32 v1, 15, v1
	v_cmp_eq_u32_e32 vcc, 0, v1
	s_orn2_b64 s[22:23], vcc, exec
.LBB6_120:                              ;   in Loop: Header=BB6_49 Depth=1
	s_or_b64 exec, exec, s[20:21]
	s_and_saveexec_b64 s[20:21], s[16:17]
	s_cbranch_execz .LBB6_122
; %bb.121:                              ;   in Loop: Header=BB6_49 Depth=1
	ds_read_b32 v1, v0 offset:784
	s_waitcnt lgkmcnt(0)
	v_and_b32_e32 v1, 15, v1
	v_cmp_eq_u32_e32 vcc, 0, v1
	s_and_b64 s[24:25], s[22:23], vcc
	s_andn2_b64 s[22:23], s[22:23], exec
	s_and_b64 s[24:25], s[24:25], exec
	s_or_b64 s[22:23], s[22:23], s[24:25]
.LBB6_122:                              ;   in Loop: Header=BB6_49 Depth=1
	s_or_b64 exec, exec, s[20:21]
	v_cmp_eq_u32_e32 vcc, 0, v0
	s_xor_b64 s[22:23], s[22:23], -1
	v_cndmask_b32_e32 v45, 0, v55, vcc
	v_cndmask_b32_e64 v0, 0, 1, s[22:23]
	v_lshlrev_b32_e32 v56, 1, v45
	s_mov_b64 s[20:21], -1
	v_cmp_ne_u32_e32 vcc, 0, v0
	v_mov_b32_e32 v6, 0
	s_cbranch_vccz .LBB6_125
; %bb.123:                              ;   in Loop: Header=BB6_49 Depth=1
	v_mov_b32_e32 v4, v43
	s_and_saveexec_b64 s[72:73], s[20:21]
	s_cbranch_execnz .LBB6_584
	s_branch .LBB6_792
.LBB6_124:                              ;   in Loop: Header=BB6_49 Depth=1
	s_mov_b64 s[20:21], 0
	s_and_saveexec_b64 s[22:23], s[10:11]
	s_cbranch_execnz .LBB6_793
	s_branch .LBB6_811
.LBB6_125:                              ;   in Loop: Header=BB6_49 Depth=1
	s_waitcnt vmcnt(0)
	buffer_store_dword v22, off, s[0:3], s33 offset:88 ; 4-byte Folded Spill
	s_nop 0
	buffer_store_dword v23, off, s[0:3], s33 offset:92 ; 4-byte Folded Spill
	buffer_load_dword v0, off, s[0:3], s33 offset:180 ; 4-byte Folded Reload
	v_lshrrev_b32_e32 v1, 11, v45
	s_waitcnt vmcnt(0)
	v_sub_u32_e32 v42, v1, v0
	v_cmp_lt_i32_e32 vcc, 0, v42
	s_and_saveexec_b64 s[72:73], vcc
	s_cbranch_execz .LBB6_513
; %bb.126:                              ;   in Loop: Header=BB6_49 Depth=1
	buffer_store_dword v1, off, s[0:3], s33 offset:212 ; 4-byte Folded Spill
	buffer_store_dword v56, off, s[0:3], s33 offset:208 ; 4-byte Folded Spill
	;; [unrolled: 1-line block ×4, first 2 shown]
	s_nop 0
	buffer_store_dword v51, off, s[0:3], s33 offset:100 ; 4-byte Folded Spill
	buffer_store_dword v52, off, s[0:3], s33 offset:104 ; 4-byte Folded Spill
	;; [unrolled: 1-line block ×3, first 2 shown]
	s_trap 2
	buffer_load_dword v4, off, s[0:3], s33 offset:224 ; 4-byte Folded Reload
	ds_read_b64 v[0:1], v0
	s_bitcmp1_b32 s94, 0
	s_mov_b64 s[74:75], 0
	s_cselect_b64 s[76:77], -1, 0
	s_waitcnt vmcnt(0)
	v_add_co_u32_e32 v58, vcc, v31, v4
	buffer_store_dword v31, off, s[0:3], s33 offset:168 ; 4-byte Folded Spill
	s_nop 0
	buffer_store_dword v32, off, s[0:3], s33 offset:172 ; 4-byte Folded Spill
	v_addc_co_u32_e32 v59, vcc, 0, v32, vcc
	s_waitcnt lgkmcnt(0)
	v_add_co_u32_e32 v52, vcc, v0, v4
	v_addc_co_u32_e32 v53, vcc, 0, v1, vcc
	v_add_co_u32_e32 v0, vcc, v12, v4
	buffer_store_dword v12, off, s[0:3], s33 offset:200 ; 4-byte Folded Spill
	s_nop 0
	buffer_store_dword v13, off, s[0:3], s33 offset:204 ; 4-byte Folded Spill
	v_addc_co_u32_e32 v1, vcc, 0, v13, vcc
	s_branch .LBB6_130
.LBB6_127:                              ;   in Loop: Header=BB6_130 Depth=2
	s_or_b64 exec, exec, s[24:25]
	v_mov_b32_e32 v44, v31
.LBB6_128:                              ;   in Loop: Header=BB6_130 Depth=2
	s_or_b64 exec, exec, s[78:79]
	v_mov_b32_e32 v13, v44
.LBB6_129:                              ;   in Loop: Header=BB6_130 Depth=2
	v_lshlrev_b32_e32 v6, 16, v18
	v_and_b32_e32 v7, 0xffff, v35
	v_lshlrev_b32_e32 v4, 16, v19
	v_and_b32_e32 v5, 0xffff, v22
	v_or_b32_e32 v6, v6, v7
	v_or3_b32 v5, v4, v5, 0
	v_or3_b32 v4, 0, 0, v6
	v_lshlrev_b32_e32 v6, 16, v20
	v_and_b32_e32 v7, 0xffff, v23
	v_or_b32_e32 v6, v6, v7
	v_lshlrev_b32_e32 v7, 16, v21
	v_and_b32_e32 v8, 0xffff, v24
	v_or3_b32 v7, v7, v8, 0
	v_lshlrev_b32_e32 v8, 16, v27
	v_and_b32_e32 v9, 0xffff, v32
	v_lshlrev_b32_e32 v17, 16, v26
	v_and_b32_e32 v18, 0xffff, v51
	v_or_b32_e32 v17, v17, v18
	v_or3_b32 v18, v8, v9, 0
	v_lshlrev_b32_e32 v8, 16, v28
	v_and_b32_e32 v9, 0xffff, v33
	v_or_b32_e32 v8, v8, v9
	v_lshlrev_b32_e32 v9, 16, v29
	v_and_b32_e32 v19, 0xffff, v34
	v_or3_b32 v20, v9, v19, 0
	v_or3_b32 v19, 0, 0, v8
	v_lshlrev_b32_e32 v8, 16, v37
	v_and_b32_e32 v9, 0xffff, v48
	v_lshlrev_b32_e32 v21, 16, v36
	v_and_b32_e32 v22, 0xffff, v43
	v_or_b32_e32 v21, v21, v22
	v_or3_b32 v22, v8, v9, 0
	v_lshlrev_b32_e32 v8, 16, v38
	v_and_b32_e32 v9, 0xffff, v49
	v_or_b32_e32 v8, v8, v9
	v_lshlrev_b32_e32 v9, 16, v39
	v_and_b32_e32 v23, 0xffff, v50
	v_or3_b32 v24, v9, v23, 0
	v_or3_b32 v23, 0, 0, v8
	v_lshlrev_b32_e32 v8, 16, v11
	v_lshlrev_b32_e32 v10, 16, v10
	v_and_b32_e32 v11, 0xffff, v25
	v_and_b32_e32 v9, 0xffff, v14
	v_or_b32_e32 v10, v10, v11
	v_or3_b32 v9, v8, v9, 0
	v_or3_b32 v8, 0, 0, v10
	v_lshlrev_b32_e32 v10, 16, v12
	v_and_b32_e32 v11, 0xffff, v15
	v_or3_b32 v21, 0, 0, v21
	v_or_b32_e32 v10, v10, v11
	v_lshlrev_b32_e32 v11, 16, v13
	v_and_b32_e32 v12, 0xffff, v16
	v_or3_b32 v6, 0, 0, v6
	v_or3_b32 v17, 0, 0, v17
	;; [unrolled: 1-line block ×4, first 2 shown]
	global_store_dwordx4 v[0:1], v[21:24], off glc slc
	global_store_dwordx4 v[0:1], v[17:20], off offset:1024 glc slc
	global_store_dwordx4 v[0:1], v[4:7], off offset:2048 glc slc
	;; [unrolled: 1-line block ×3, first 2 shown]
	buffer_load_dword v4, off, s[0:3], s33 offset:60 ; 4-byte Folded Reload
	v_mov_b32_e32 v44, v56
	v_sub_u32_e32 v42, v42, v44
	s_waitcnt vmcnt(0)
	v_add_co_u32_e32 v58, vcc, v58, v4
	v_addc_co_u32_e32 v59, vcc, 0, v59, vcc
	v_add_co_u32_e32 v52, vcc, v52, v4
	v_addc_co_u32_e32 v53, vcc, 0, v53, vcc
	v_cmp_gt_i32_e32 vcc, 1, v42
	s_or_b64 s[74:75], vcc, s[74:75]
	v_add_co_u32_e32 v0, vcc, v0, v4
	v_addc_co_u32_e32 v1, vcc, 0, v1, vcc
	s_andn2_b64 exec, exec, s[74:75]
	s_cbranch_execz .LBB6_512
.LBB6_130:                              ;   Parent Loop BB6_49 Depth=1
                                        ; =>  This Inner Loop Header: Depth=2
	global_load_dwordx4 v[36:39], v[58:59], off glc slc
	global_load_dwordx4 v[26:29], v[58:59], off offset:1024 glc slc
	global_load_dwordx4 v[18:21], v[58:59], off offset:2048 glc slc
	;; [unrolled: 1-line block ×3, first 2 shown]
	global_load_dwordx4 v[48:51], v[52:53], off glc slc
	global_load_dwordx4 v[32:35], v[52:53], off offset:1024 glc slc
	global_load_dwordx4 v[22:25], v[52:53], off offset:2048 glc slc
	;; [unrolled: 1-line block ×3, first 2 shown]
	s_mov_b64 s[24:25], -1
	s_and_b64 vcc, exec, s[76:77]
                                        ; implicit-def: $vgpr43
	s_waitcnt vmcnt(7)
	v_and_b32_e32 v4, 0x7fff, v36
	v_cmp_lt_u16_e64 s[20:21], s35, v4
	s_waitcnt vmcnt(3)
	v_and_b32_e32 v31, 0x7fff, v48
	v_cmp_gt_u16_e64 s[22:23], s36, v31
	s_and_b64 s[26:27], s[20:21], s[22:23]
	s_xor_b64 s[26:27], s[26:27], -1
	s_cbranch_vccz .LBB6_136
; %bb.131:                              ;   in Loop: Header=BB6_130 Depth=2
	v_mov_b32_e32 v43, v48
	s_and_saveexec_b64 s[78:79], s[26:27]
	s_cbranch_execz .LBB6_135
; %bb.132:                              ;   in Loop: Header=BB6_130 Depth=2
	s_or_b64 s[24:25], s[20:21], s[22:23]
	v_mov_b32_e32 v43, v36
	s_and_saveexec_b64 s[88:89], s[24:25]
; %bb.133:                              ;   in Loop: Header=BB6_130 Depth=2
	v_cmp_lt_u16_e32 vcc, s35, v31
	v_cmp_gt_f16_e64 s[24:25], v36, v48
	v_cndmask_b32_e64 v4, v48, v36, s[24:25]
	s_and_b64 vcc, s[20:21], vcc
	v_cndmask_b32_e32 v43, v4, v60, vcc
; %bb.134:                              ;   in Loop: Header=BB6_130 Depth=2
	s_or_b64 exec, exec, s[88:89]
.LBB6_135:                              ;   in Loop: Header=BB6_130 Depth=2
	s_or_b64 exec, exec, s[78:79]
	s_mov_b64 s[24:25], 0
.LBB6_136:                              ;   in Loop: Header=BB6_130 Depth=2
	s_andn2_b64 vcc, exec, s[24:25]
	s_cbranch_vccnz .LBB6_142
; %bb.137:                              ;   in Loop: Header=BB6_130 Depth=2
	v_mov_b32_e32 v43, v48
	s_and_saveexec_b64 s[24:25], s[26:27]
	s_cbranch_execz .LBB6_141
; %bb.138:                              ;   in Loop: Header=BB6_130 Depth=2
	s_or_b64 s[22:23], s[20:21], s[22:23]
	v_mov_b32_e32 v43, v36
	s_and_saveexec_b64 s[26:27], s[22:23]
; %bb.139:                              ;   in Loop: Header=BB6_130 Depth=2
	v_cmp_lt_u16_e32 vcc, s35, v31
	v_cmp_gt_f16_e64 s[22:23], v36, v48
	v_cndmask_b32_e64 v4, v36, v48, s[22:23]
	s_and_b64 vcc, s[20:21], vcc
	v_cndmask_b32_e32 v43, v4, v60, vcc
; %bb.140:                              ;   in Loop: Header=BB6_130 Depth=2
	s_or_b64 exec, exec, s[26:27]
.LBB6_141:                              ;   in Loop: Header=BB6_130 Depth=2
	s_or_b64 exec, exec, s[24:25]
.LBB6_142:                              ;   in Loop: Header=BB6_130 Depth=2
	v_mov_b32_e32 v56, v44
	v_perm_b32 v31, v48, v36, s37
	v_lshrrev_b32_e32 v44, 16, v48
	v_lshrrev_b32_e32 v48, 16, v36
	v_and_b32_e32 v4, 0x7fff, v48
	v_and_b32_e32 v45, 0x7fff, v44
	v_cmp_lt_u16_e64 s[20:21], s35, v4
	v_cmp_gt_u16_e64 s[22:23], s36, v45
	s_and_b64 s[26:27], s[20:21], s[22:23]
	s_mov_b64 s[24:25], -1
	s_xor_b64 s[26:27], s[26:27], -1
	s_and_b64 vcc, exec, s[76:77]
                                        ; implicit-def: $vgpr36
	s_cbranch_vccz .LBB6_148
; %bb.143:                              ;   in Loop: Header=BB6_130 Depth=2
	v_mov_b32_e32 v36, v44
	s_and_saveexec_b64 s[78:79], s[26:27]
	s_cbranch_execz .LBB6_147
; %bb.144:                              ;   in Loop: Header=BB6_130 Depth=2
	s_or_b64 s[24:25], s[20:21], s[22:23]
	v_mov_b32_e32 v36, v48
	s_and_saveexec_b64 s[88:89], s[24:25]
; %bb.145:                              ;   in Loop: Header=BB6_130 Depth=2
	v_lshrrev_b32_e32 v4, 16, v31
	v_cmp_lt_u16_e32 vcc, s35, v45
	v_cmp_gt_f16_e64 s[24:25], v31, v4
	v_cndmask_b32_e64 v4, v4, v31, s[24:25]
	s_and_b64 vcc, s[20:21], vcc
	v_cndmask_b32_e32 v36, v4, v60, vcc
; %bb.146:                              ;   in Loop: Header=BB6_130 Depth=2
	s_or_b64 exec, exec, s[88:89]
.LBB6_147:                              ;   in Loop: Header=BB6_130 Depth=2
	s_or_b64 exec, exec, s[78:79]
	s_mov_b64 s[24:25], 0
.LBB6_148:                              ;   in Loop: Header=BB6_130 Depth=2
	s_andn2_b64 vcc, exec, s[24:25]
	s_cbranch_vccnz .LBB6_154
; %bb.149:                              ;   in Loop: Header=BB6_130 Depth=2
	s_and_saveexec_b64 s[24:25], s[26:27]
	s_cbranch_execz .LBB6_153
; %bb.150:                              ;   in Loop: Header=BB6_130 Depth=2
	s_or_b64 s[22:23], s[20:21], s[22:23]
	s_and_saveexec_b64 s[26:27], s[22:23]
; %bb.151:                              ;   in Loop: Header=BB6_130 Depth=2
	v_lshrrev_b32_e32 v4, 16, v31
	v_cmp_lt_u16_e32 vcc, s35, v45
	v_cmp_gt_f16_e64 s[22:23], v31, v4
	v_cndmask_b32_e64 v4, v31, v4, s[22:23]
	s_and_b64 vcc, s[20:21], vcc
	v_cndmask_b32_e32 v48, v4, v60, vcc
; %bb.152:                              ;   in Loop: Header=BB6_130 Depth=2
	s_or_b64 exec, exec, s[26:27]
	v_mov_b32_e32 v44, v48
.LBB6_153:                              ;   in Loop: Header=BB6_130 Depth=2
	s_or_b64 exec, exec, s[24:25]
	v_mov_b32_e32 v36, v44
.LBB6_154:                              ;   in Loop: Header=BB6_130 Depth=2
	v_and_b32_e32 v4, 0x7fff, v37
	v_and_b32_e32 v44, 0x7fff, v49
	v_cmp_lt_u16_e64 s[20:21], s35, v4
	v_cmp_gt_u16_e64 s[22:23], s36, v44
	s_and_b64 s[26:27], s[20:21], s[22:23]
	v_perm_b32 v31, v49, v37, s38
	s_mov_b64 s[24:25], -1
	s_xor_b64 s[26:27], s[26:27], -1
	s_and_b64 vcc, exec, s[76:77]
                                        ; implicit-def: $vgpr48
	s_cbranch_vccz .LBB6_160
; %bb.155:                              ;   in Loop: Header=BB6_130 Depth=2
	v_mov_b32_e32 v48, v49
	s_and_saveexec_b64 s[78:79], s[26:27]
	s_cbranch_execz .LBB6_159
; %bb.156:                              ;   in Loop: Header=BB6_130 Depth=2
	s_or_b64 s[24:25], s[20:21], s[22:23]
	v_mov_b32_e32 v48, v37
	s_and_saveexec_b64 s[88:89], s[24:25]
; %bb.157:                              ;   in Loop: Header=BB6_130 Depth=2
	v_lshrrev_b32_e32 v4, 16, v31
	v_cmp_lt_u16_e32 vcc, s35, v44
	v_cmp_gt_f16_e64 s[24:25], v31, v4
	v_cndmask_b32_e64 v4, v4, v31, s[24:25]
	s_and_b64 vcc, s[20:21], vcc
	v_cndmask_b32_e32 v48, v4, v60, vcc
; %bb.158:                              ;   in Loop: Header=BB6_130 Depth=2
	s_or_b64 exec, exec, s[88:89]
.LBB6_159:                              ;   in Loop: Header=BB6_130 Depth=2
	s_or_b64 exec, exec, s[78:79]
	s_mov_b64 s[24:25], 0
.LBB6_160:                              ;   in Loop: Header=BB6_130 Depth=2
	s_andn2_b64 vcc, exec, s[24:25]
	s_cbranch_vccnz .LBB6_166
; %bb.161:                              ;   in Loop: Header=BB6_130 Depth=2
	v_mov_b32_e32 v48, v49
	s_and_saveexec_b64 s[24:25], s[26:27]
	s_cbranch_execz .LBB6_165
; %bb.162:                              ;   in Loop: Header=BB6_130 Depth=2
	s_or_b64 s[22:23], s[20:21], s[22:23]
	v_mov_b32_e32 v48, v37
	s_and_saveexec_b64 s[26:27], s[22:23]
; %bb.163:                              ;   in Loop: Header=BB6_130 Depth=2
	v_lshrrev_b32_e32 v4, 16, v31
	v_cmp_lt_u16_e32 vcc, s35, v44
	v_cmp_gt_f16_e64 s[22:23], v31, v4
	v_cndmask_b32_e64 v4, v31, v4, s[22:23]
	s_and_b64 vcc, s[20:21], vcc
	v_cndmask_b32_e32 v48, v4, v60, vcc
; %bb.164:                              ;   in Loop: Header=BB6_130 Depth=2
	s_or_b64 exec, exec, s[26:27]
.LBB6_165:                              ;   in Loop: Header=BB6_130 Depth=2
	s_or_b64 exec, exec, s[24:25]
.LBB6_166:                              ;   in Loop: Header=BB6_130 Depth=2
	v_lshrrev_b32_e32 v31, 16, v37
	v_lshrrev_b32_e32 v44, 16, v49
	v_and_b32_e32 v4, 0x7fff, v31
	v_and_b32_e32 v45, 0x7fff, v44
	v_cmp_lt_u16_e64 s[20:21], s35, v4
	v_cmp_gt_u16_e64 s[22:23], s36, v45
	s_and_b64 s[26:27], s[20:21], s[22:23]
	v_perm_b32 v49, v49, v37, s37
	s_mov_b64 s[24:25], -1
	s_xor_b64 s[26:27], s[26:27], -1
	s_and_b64 vcc, exec, s[76:77]
                                        ; implicit-def: $vgpr37
	s_cbranch_vccz .LBB6_172
; %bb.167:                              ;   in Loop: Header=BB6_130 Depth=2
	v_mov_b32_e32 v37, v44
	s_and_saveexec_b64 s[78:79], s[26:27]
	s_cbranch_execz .LBB6_171
; %bb.168:                              ;   in Loop: Header=BB6_130 Depth=2
	s_or_b64 s[24:25], s[20:21], s[22:23]
	v_mov_b32_e32 v37, v31
	s_and_saveexec_b64 s[88:89], s[24:25]
; %bb.169:                              ;   in Loop: Header=BB6_130 Depth=2
	v_lshrrev_b32_e32 v4, 16, v49
	v_cmp_lt_u16_e32 vcc, s35, v45
	v_cmp_gt_f16_e64 s[24:25], v49, v4
	v_cndmask_b32_e64 v4, v4, v49, s[24:25]
	s_and_b64 vcc, s[20:21], vcc
	v_cndmask_b32_e32 v37, v4, v60, vcc
; %bb.170:                              ;   in Loop: Header=BB6_130 Depth=2
	s_or_b64 exec, exec, s[88:89]
.LBB6_171:                              ;   in Loop: Header=BB6_130 Depth=2
	s_or_b64 exec, exec, s[78:79]
	s_mov_b64 s[24:25], 0
.LBB6_172:                              ;   in Loop: Header=BB6_130 Depth=2
	s_andn2_b64 vcc, exec, s[24:25]
	s_cbranch_vccnz .LBB6_178
; %bb.173:                              ;   in Loop: Header=BB6_130 Depth=2
	s_and_saveexec_b64 s[24:25], s[26:27]
	s_cbranch_execz .LBB6_177
; %bb.174:                              ;   in Loop: Header=BB6_130 Depth=2
	s_or_b64 s[22:23], s[20:21], s[22:23]
	s_and_saveexec_b64 s[26:27], s[22:23]
; %bb.175:                              ;   in Loop: Header=BB6_130 Depth=2
	v_lshrrev_b32_e32 v4, 16, v49
	v_cmp_lt_u16_e32 vcc, s35, v45
	v_cmp_gt_f16_e64 s[22:23], v49, v4
	v_cndmask_b32_e64 v4, v49, v4, s[22:23]
	s_and_b64 vcc, s[20:21], vcc
	v_cndmask_b32_e32 v31, v4, v60, vcc
; %bb.176:                              ;   in Loop: Header=BB6_130 Depth=2
	s_or_b64 exec, exec, s[26:27]
	v_mov_b32_e32 v44, v31
.LBB6_177:                              ;   in Loop: Header=BB6_130 Depth=2
	s_or_b64 exec, exec, s[24:25]
	v_mov_b32_e32 v37, v44
.LBB6_178:                              ;   in Loop: Header=BB6_130 Depth=2
	v_and_b32_e32 v4, 0x7fff, v38
	v_and_b32_e32 v31, 0x7fff, v50
	v_cmp_lt_u16_e64 s[20:21], s35, v4
	v_cmp_gt_u16_e64 s[22:23], s36, v31
	s_and_b64 s[26:27], s[20:21], s[22:23]
	s_mov_b64 s[24:25], -1
	s_xor_b64 s[26:27], s[26:27], -1
	s_and_b64 vcc, exec, s[76:77]
                                        ; implicit-def: $vgpr49
	s_cbranch_vccz .LBB6_184
; %bb.179:                              ;   in Loop: Header=BB6_130 Depth=2
	v_mov_b32_e32 v49, v50
	s_and_saveexec_b64 s[78:79], s[26:27]
	s_cbranch_execz .LBB6_183
; %bb.180:                              ;   in Loop: Header=BB6_130 Depth=2
	s_or_b64 s[24:25], s[20:21], s[22:23]
	v_mov_b32_e32 v49, v38
	s_and_saveexec_b64 s[88:89], s[24:25]
; %bb.181:                              ;   in Loop: Header=BB6_130 Depth=2
	v_cmp_lt_u16_e32 vcc, s35, v31
	v_cmp_gt_f16_e64 s[24:25], v38, v50
	v_cndmask_b32_e64 v4, v50, v38, s[24:25]
	s_and_b64 vcc, s[20:21], vcc
	v_cndmask_b32_e32 v49, v4, v60, vcc
; %bb.182:                              ;   in Loop: Header=BB6_130 Depth=2
	s_or_b64 exec, exec, s[88:89]
.LBB6_183:                              ;   in Loop: Header=BB6_130 Depth=2
	s_or_b64 exec, exec, s[78:79]
	s_mov_b64 s[24:25], 0
.LBB6_184:                              ;   in Loop: Header=BB6_130 Depth=2
	s_andn2_b64 vcc, exec, s[24:25]
	s_cbranch_vccnz .LBB6_190
; %bb.185:                              ;   in Loop: Header=BB6_130 Depth=2
	v_mov_b32_e32 v49, v50
	s_and_saveexec_b64 s[24:25], s[26:27]
	s_cbranch_execz .LBB6_189
; %bb.186:                              ;   in Loop: Header=BB6_130 Depth=2
	s_or_b64 s[22:23], s[20:21], s[22:23]
	v_mov_b32_e32 v49, v38
	s_and_saveexec_b64 s[26:27], s[22:23]
; %bb.187:                              ;   in Loop: Header=BB6_130 Depth=2
	v_cmp_lt_u16_e32 vcc, s35, v31
	v_cmp_gt_f16_e64 s[22:23], v38, v50
	v_cndmask_b32_e64 v4, v38, v50, s[22:23]
	s_and_b64 vcc, s[20:21], vcc
	v_cndmask_b32_e32 v49, v4, v60, vcc
; %bb.188:                              ;   in Loop: Header=BB6_130 Depth=2
	s_or_b64 exec, exec, s[26:27]
.LBB6_189:                              ;   in Loop: Header=BB6_130 Depth=2
	s_or_b64 exec, exec, s[24:25]
.LBB6_190:                              ;   in Loop: Header=BB6_130 Depth=2
	v_perm_b32 v31, v50, v38, s37
	v_lshrrev_b32_e32 v44, 16, v50
	v_lshrrev_b32_e32 v50, 16, v38
	v_and_b32_e32 v4, 0x7fff, v50
	v_and_b32_e32 v45, 0x7fff, v44
	v_cmp_lt_u16_e64 s[20:21], s35, v4
	v_cmp_gt_u16_e64 s[22:23], s36, v45
	s_and_b64 s[26:27], s[20:21], s[22:23]
	s_mov_b64 s[24:25], -1
	s_xor_b64 s[26:27], s[26:27], -1
	s_and_b64 vcc, exec, s[76:77]
                                        ; implicit-def: $vgpr38
	s_cbranch_vccz .LBB6_196
; %bb.191:                              ;   in Loop: Header=BB6_130 Depth=2
	v_mov_b32_e32 v38, v44
	s_and_saveexec_b64 s[78:79], s[26:27]
	s_cbranch_execz .LBB6_195
; %bb.192:                              ;   in Loop: Header=BB6_130 Depth=2
	s_or_b64 s[24:25], s[20:21], s[22:23]
	v_mov_b32_e32 v38, v50
	s_and_saveexec_b64 s[88:89], s[24:25]
; %bb.193:                              ;   in Loop: Header=BB6_130 Depth=2
	v_lshrrev_b32_e32 v4, 16, v31
	v_cmp_lt_u16_e32 vcc, s35, v45
	v_cmp_gt_f16_e64 s[24:25], v31, v4
	v_cndmask_b32_e64 v4, v4, v31, s[24:25]
	s_and_b64 vcc, s[20:21], vcc
	v_cndmask_b32_e32 v38, v4, v60, vcc
; %bb.194:                              ;   in Loop: Header=BB6_130 Depth=2
	s_or_b64 exec, exec, s[88:89]
.LBB6_195:                              ;   in Loop: Header=BB6_130 Depth=2
	s_or_b64 exec, exec, s[78:79]
	s_mov_b64 s[24:25], 0
.LBB6_196:                              ;   in Loop: Header=BB6_130 Depth=2
	s_andn2_b64 vcc, exec, s[24:25]
	s_cbranch_vccnz .LBB6_202
; %bb.197:                              ;   in Loop: Header=BB6_130 Depth=2
	s_and_saveexec_b64 s[24:25], s[26:27]
	s_cbranch_execz .LBB6_201
; %bb.198:                              ;   in Loop: Header=BB6_130 Depth=2
	s_or_b64 s[22:23], s[20:21], s[22:23]
	s_and_saveexec_b64 s[26:27], s[22:23]
; %bb.199:                              ;   in Loop: Header=BB6_130 Depth=2
	v_lshrrev_b32_e32 v4, 16, v31
	v_cmp_lt_u16_e32 vcc, s35, v45
	v_cmp_gt_f16_e64 s[22:23], v31, v4
	v_cndmask_b32_e64 v4, v31, v4, s[22:23]
	s_and_b64 vcc, s[20:21], vcc
	v_cndmask_b32_e32 v50, v4, v60, vcc
; %bb.200:                              ;   in Loop: Header=BB6_130 Depth=2
	s_or_b64 exec, exec, s[26:27]
	v_mov_b32_e32 v44, v50
.LBB6_201:                              ;   in Loop: Header=BB6_130 Depth=2
	s_or_b64 exec, exec, s[24:25]
	v_mov_b32_e32 v38, v44
.LBB6_202:                              ;   in Loop: Header=BB6_130 Depth=2
	v_and_b32_e32 v4, 0x7fff, v39
	v_and_b32_e32 v44, 0x7fff, v51
	v_cmp_lt_u16_e64 s[20:21], s35, v4
	v_cmp_gt_u16_e64 s[22:23], s36, v44
	s_and_b64 s[26:27], s[20:21], s[22:23]
	v_perm_b32 v31, v51, v39, s38
	s_mov_b64 s[24:25], -1
	s_xor_b64 s[26:27], s[26:27], -1
	s_and_b64 vcc, exec, s[76:77]
                                        ; implicit-def: $vgpr50
	s_cbranch_vccz .LBB6_208
; %bb.203:                              ;   in Loop: Header=BB6_130 Depth=2
	v_mov_b32_e32 v50, v51
	s_and_saveexec_b64 s[78:79], s[26:27]
	s_cbranch_execz .LBB6_207
; %bb.204:                              ;   in Loop: Header=BB6_130 Depth=2
	s_or_b64 s[24:25], s[20:21], s[22:23]
	v_mov_b32_e32 v50, v39
	s_and_saveexec_b64 s[88:89], s[24:25]
; %bb.205:                              ;   in Loop: Header=BB6_130 Depth=2
	v_lshrrev_b32_e32 v4, 16, v31
	v_cmp_lt_u16_e32 vcc, s35, v44
	v_cmp_gt_f16_e64 s[24:25], v31, v4
	v_cndmask_b32_e64 v4, v4, v31, s[24:25]
	s_and_b64 vcc, s[20:21], vcc
	v_cndmask_b32_e32 v50, v4, v60, vcc
; %bb.206:                              ;   in Loop: Header=BB6_130 Depth=2
	s_or_b64 exec, exec, s[88:89]
.LBB6_207:                              ;   in Loop: Header=BB6_130 Depth=2
	s_or_b64 exec, exec, s[78:79]
	s_mov_b64 s[24:25], 0
.LBB6_208:                              ;   in Loop: Header=BB6_130 Depth=2
	s_andn2_b64 vcc, exec, s[24:25]
	s_cbranch_vccnz .LBB6_214
; %bb.209:                              ;   in Loop: Header=BB6_130 Depth=2
	v_mov_b32_e32 v50, v51
	s_and_saveexec_b64 s[24:25], s[26:27]
	s_cbranch_execz .LBB6_213
; %bb.210:                              ;   in Loop: Header=BB6_130 Depth=2
	s_or_b64 s[22:23], s[20:21], s[22:23]
	v_mov_b32_e32 v50, v39
	s_and_saveexec_b64 s[26:27], s[22:23]
; %bb.211:                              ;   in Loop: Header=BB6_130 Depth=2
	v_lshrrev_b32_e32 v4, 16, v31
	v_cmp_lt_u16_e32 vcc, s35, v44
	v_cmp_gt_f16_e64 s[22:23], v31, v4
	v_cndmask_b32_e64 v4, v31, v4, s[22:23]
	s_and_b64 vcc, s[20:21], vcc
	v_cndmask_b32_e32 v50, v4, v60, vcc
; %bb.212:                              ;   in Loop: Header=BB6_130 Depth=2
	s_or_b64 exec, exec, s[26:27]
.LBB6_213:                              ;   in Loop: Header=BB6_130 Depth=2
	s_or_b64 exec, exec, s[24:25]
.LBB6_214:                              ;   in Loop: Header=BB6_130 Depth=2
	v_lshrrev_b32_e32 v31, 16, v39
	v_lshrrev_b32_e32 v44, 16, v51
	v_and_b32_e32 v4, 0x7fff, v31
	v_and_b32_e32 v45, 0x7fff, v44
	v_cmp_lt_u16_e64 s[20:21], s35, v4
	v_cmp_gt_u16_e64 s[22:23], s36, v45
	s_and_b64 s[26:27], s[20:21], s[22:23]
	v_perm_b32 v51, v51, v39, s37
	s_mov_b64 s[24:25], -1
	s_xor_b64 s[26:27], s[26:27], -1
	s_and_b64 vcc, exec, s[76:77]
                                        ; implicit-def: $vgpr39
	s_cbranch_vccz .LBB6_220
; %bb.215:                              ;   in Loop: Header=BB6_130 Depth=2
	v_mov_b32_e32 v39, v44
	s_and_saveexec_b64 s[78:79], s[26:27]
	s_cbranch_execz .LBB6_219
; %bb.216:                              ;   in Loop: Header=BB6_130 Depth=2
	s_or_b64 s[24:25], s[20:21], s[22:23]
	v_mov_b32_e32 v39, v31
	s_and_saveexec_b64 s[88:89], s[24:25]
; %bb.217:                              ;   in Loop: Header=BB6_130 Depth=2
	v_lshrrev_b32_e32 v4, 16, v51
	v_cmp_lt_u16_e32 vcc, s35, v45
	v_cmp_gt_f16_e64 s[24:25], v51, v4
	v_cndmask_b32_e64 v4, v4, v51, s[24:25]
	s_and_b64 vcc, s[20:21], vcc
	v_cndmask_b32_e32 v39, v4, v60, vcc
; %bb.218:                              ;   in Loop: Header=BB6_130 Depth=2
	s_or_b64 exec, exec, s[88:89]
.LBB6_219:                              ;   in Loop: Header=BB6_130 Depth=2
	s_or_b64 exec, exec, s[78:79]
	s_mov_b64 s[24:25], 0
.LBB6_220:                              ;   in Loop: Header=BB6_130 Depth=2
	s_andn2_b64 vcc, exec, s[24:25]
	s_cbranch_vccnz .LBB6_226
; %bb.221:                              ;   in Loop: Header=BB6_130 Depth=2
	s_and_saveexec_b64 s[24:25], s[26:27]
	s_cbranch_execz .LBB6_225
; %bb.222:                              ;   in Loop: Header=BB6_130 Depth=2
	s_or_b64 s[22:23], s[20:21], s[22:23]
	s_and_saveexec_b64 s[26:27], s[22:23]
; %bb.223:                              ;   in Loop: Header=BB6_130 Depth=2
	v_lshrrev_b32_e32 v4, 16, v51
	v_cmp_lt_u16_e32 vcc, s35, v45
	v_cmp_gt_f16_e64 s[22:23], v51, v4
	v_cndmask_b32_e64 v4, v51, v4, s[22:23]
	s_and_b64 vcc, s[20:21], vcc
	v_cndmask_b32_e32 v31, v4, v60, vcc
; %bb.224:                              ;   in Loop: Header=BB6_130 Depth=2
	s_or_b64 exec, exec, s[26:27]
	v_mov_b32_e32 v44, v31
.LBB6_225:                              ;   in Loop: Header=BB6_130 Depth=2
	s_or_b64 exec, exec, s[24:25]
	v_mov_b32_e32 v39, v44
.LBB6_226:                              ;   in Loop: Header=BB6_130 Depth=2
	v_and_b32_e32 v4, 0x7fff, v26
	s_waitcnt vmcnt(2)
	v_and_b32_e32 v31, 0x7fff, v32
	v_cmp_lt_u16_e64 s[22:23], s35, v4
	v_cmp_gt_u16_e64 s[24:25], s36, v31
	s_and_b64 s[20:21], s[22:23], s[24:25]
	v_cndmask_b32_e64 v4, 0, 1, s[76:77]
	s_mov_b64 s[26:27], -1
	s_xor_b64 s[78:79], s[20:21], -1
	v_cmp_ne_u32_e64 s[20:21], 1, v4
	s_andn2_b64 vcc, exec, s[76:77]
                                        ; implicit-def: $vgpr51
	s_cbranch_vccnz .LBB6_232
; %bb.227:                              ;   in Loop: Header=BB6_130 Depth=2
	v_mov_b32_e32 v51, v32
	s_and_saveexec_b64 s[88:89], s[78:79]
	s_cbranch_execz .LBB6_231
; %bb.228:                              ;   in Loop: Header=BB6_130 Depth=2
	s_or_b64 s[26:27], s[22:23], s[24:25]
	v_mov_b32_e32 v51, v26
	s_and_saveexec_b64 s[90:91], s[26:27]
; %bb.229:                              ;   in Loop: Header=BB6_130 Depth=2
	v_cmp_lt_u16_e32 vcc, s35, v31
	v_cmp_gt_f16_e64 s[26:27], v26, v32
	v_cndmask_b32_e64 v4, v32, v26, s[26:27]
	s_and_b64 vcc, s[22:23], vcc
	v_cndmask_b32_e32 v51, v4, v60, vcc
; %bb.230:                              ;   in Loop: Header=BB6_130 Depth=2
	s_or_b64 exec, exec, s[90:91]
.LBB6_231:                              ;   in Loop: Header=BB6_130 Depth=2
	s_or_b64 exec, exec, s[88:89]
	s_mov_b64 s[26:27], 0
.LBB6_232:                              ;   in Loop: Header=BB6_130 Depth=2
	s_andn2_b64 vcc, exec, s[26:27]
	s_cbranch_vccnz .LBB6_238
; %bb.233:                              ;   in Loop: Header=BB6_130 Depth=2
	v_mov_b32_e32 v51, v32
	s_and_saveexec_b64 s[26:27], s[78:79]
	s_cbranch_execz .LBB6_237
; %bb.234:                              ;   in Loop: Header=BB6_130 Depth=2
	s_or_b64 s[24:25], s[22:23], s[24:25]
	v_mov_b32_e32 v51, v26
	s_and_saveexec_b64 s[78:79], s[24:25]
; %bb.235:                              ;   in Loop: Header=BB6_130 Depth=2
	v_cmp_lt_u16_e32 vcc, s35, v31
	v_cmp_gt_f16_e64 s[24:25], v26, v32
	v_cndmask_b32_e64 v4, v26, v32, s[24:25]
	s_and_b64 vcc, s[22:23], vcc
	v_cndmask_b32_e32 v51, v4, v60, vcc
; %bb.236:                              ;   in Loop: Header=BB6_130 Depth=2
	s_or_b64 exec, exec, s[78:79]
.LBB6_237:                              ;   in Loop: Header=BB6_130 Depth=2
	s_or_b64 exec, exec, s[26:27]
.LBB6_238:                              ;   in Loop: Header=BB6_130 Depth=2
	v_perm_b32 v31, v32, v26, s37
	v_lshrrev_b32_e32 v44, 16, v32
	v_lshrrev_b32_e32 v32, 16, v26
	v_and_b32_e32 v4, 0x7fff, v32
	v_and_b32_e32 v45, 0x7fff, v44
	v_cmp_lt_u16_e64 s[22:23], s35, v4
	v_cmp_gt_u16_e64 s[24:25], s36, v45
	s_and_b64 s[78:79], s[22:23], s[24:25]
	s_mov_b64 s[26:27], -1
	s_and_b64 vcc, exec, s[20:21]
	s_xor_b64 s[78:79], s[78:79], -1
                                        ; implicit-def: $vgpr26
	s_cbranch_vccnz .LBB6_244
; %bb.239:                              ;   in Loop: Header=BB6_130 Depth=2
	v_mov_b32_e32 v26, v44
	s_and_saveexec_b64 s[88:89], s[78:79]
	s_cbranch_execz .LBB6_243
; %bb.240:                              ;   in Loop: Header=BB6_130 Depth=2
	s_or_b64 s[26:27], s[22:23], s[24:25]
	v_mov_b32_e32 v26, v32
	s_and_saveexec_b64 s[90:91], s[26:27]
; %bb.241:                              ;   in Loop: Header=BB6_130 Depth=2
	v_lshrrev_b32_e32 v4, 16, v31
	v_cmp_lt_u16_e32 vcc, s35, v45
	v_cmp_gt_f16_e64 s[26:27], v31, v4
	v_cndmask_b32_e64 v4, v4, v31, s[26:27]
	s_and_b64 vcc, s[22:23], vcc
	v_cndmask_b32_e32 v26, v4, v60, vcc
; %bb.242:                              ;   in Loop: Header=BB6_130 Depth=2
	s_or_b64 exec, exec, s[90:91]
.LBB6_243:                              ;   in Loop: Header=BB6_130 Depth=2
	s_or_b64 exec, exec, s[88:89]
	s_mov_b64 s[26:27], 0
.LBB6_244:                              ;   in Loop: Header=BB6_130 Depth=2
	s_andn2_b64 vcc, exec, s[26:27]
	s_cbranch_vccnz .LBB6_250
; %bb.245:                              ;   in Loop: Header=BB6_130 Depth=2
	s_and_saveexec_b64 s[26:27], s[78:79]
	s_cbranch_execz .LBB6_249
; %bb.246:                              ;   in Loop: Header=BB6_130 Depth=2
	s_or_b64 s[24:25], s[22:23], s[24:25]
	s_and_saveexec_b64 s[78:79], s[24:25]
; %bb.247:                              ;   in Loop: Header=BB6_130 Depth=2
	v_lshrrev_b32_e32 v4, 16, v31
	v_cmp_lt_u16_e32 vcc, s35, v45
	v_cmp_gt_f16_e64 s[24:25], v31, v4
	v_cndmask_b32_e64 v4, v31, v4, s[24:25]
	s_and_b64 vcc, s[22:23], vcc
	v_cndmask_b32_e32 v32, v4, v60, vcc
; %bb.248:                              ;   in Loop: Header=BB6_130 Depth=2
	s_or_b64 exec, exec, s[78:79]
	v_mov_b32_e32 v44, v32
.LBB6_249:                              ;   in Loop: Header=BB6_130 Depth=2
	s_or_b64 exec, exec, s[26:27]
	v_mov_b32_e32 v26, v44
.LBB6_250:                              ;   in Loop: Header=BB6_130 Depth=2
	v_and_b32_e32 v4, 0x7fff, v27
	v_and_b32_e32 v44, 0x7fff, v33
	v_cmp_lt_u16_e64 s[22:23], s35, v4
	v_cmp_gt_u16_e64 s[24:25], s36, v44
	s_and_b64 s[78:79], s[22:23], s[24:25]
	v_perm_b32 v31, v33, v27, s38
	s_mov_b64 s[26:27], -1
	s_and_b64 vcc, exec, s[20:21]
	s_xor_b64 s[78:79], s[78:79], -1
                                        ; implicit-def: $vgpr32
	s_cbranch_vccnz .LBB6_256
; %bb.251:                              ;   in Loop: Header=BB6_130 Depth=2
	v_mov_b32_e32 v32, v33
	s_and_saveexec_b64 s[88:89], s[78:79]
	s_cbranch_execz .LBB6_255
; %bb.252:                              ;   in Loop: Header=BB6_130 Depth=2
	s_or_b64 s[26:27], s[22:23], s[24:25]
	v_mov_b32_e32 v32, v27
	s_and_saveexec_b64 s[90:91], s[26:27]
; %bb.253:                              ;   in Loop: Header=BB6_130 Depth=2
	v_lshrrev_b32_e32 v4, 16, v31
	v_cmp_lt_u16_e32 vcc, s35, v44
	v_cmp_gt_f16_e64 s[26:27], v31, v4
	v_cndmask_b32_e64 v4, v4, v31, s[26:27]
	s_and_b64 vcc, s[22:23], vcc
	v_cndmask_b32_e32 v32, v4, v60, vcc
; %bb.254:                              ;   in Loop: Header=BB6_130 Depth=2
	s_or_b64 exec, exec, s[90:91]
.LBB6_255:                              ;   in Loop: Header=BB6_130 Depth=2
	s_or_b64 exec, exec, s[88:89]
	s_mov_b64 s[26:27], 0
.LBB6_256:                              ;   in Loop: Header=BB6_130 Depth=2
	s_andn2_b64 vcc, exec, s[26:27]
	s_cbranch_vccnz .LBB6_262
; %bb.257:                              ;   in Loop: Header=BB6_130 Depth=2
	v_mov_b32_e32 v32, v33
	s_and_saveexec_b64 s[26:27], s[78:79]
	s_cbranch_execz .LBB6_261
; %bb.258:                              ;   in Loop: Header=BB6_130 Depth=2
	s_or_b64 s[24:25], s[22:23], s[24:25]
	v_mov_b32_e32 v32, v27
	s_and_saveexec_b64 s[78:79], s[24:25]
; %bb.259:                              ;   in Loop: Header=BB6_130 Depth=2
	v_lshrrev_b32_e32 v4, 16, v31
	v_cmp_lt_u16_e32 vcc, s35, v44
	v_cmp_gt_f16_e64 s[24:25], v31, v4
	v_cndmask_b32_e64 v4, v31, v4, s[24:25]
	s_and_b64 vcc, s[22:23], vcc
	v_cndmask_b32_e32 v32, v4, v60, vcc
; %bb.260:                              ;   in Loop: Header=BB6_130 Depth=2
	s_or_b64 exec, exec, s[78:79]
.LBB6_261:                              ;   in Loop: Header=BB6_130 Depth=2
	s_or_b64 exec, exec, s[26:27]
.LBB6_262:                              ;   in Loop: Header=BB6_130 Depth=2
	v_lshrrev_b32_e32 v31, 16, v27
	v_lshrrev_b32_e32 v44, 16, v33
	v_and_b32_e32 v4, 0x7fff, v31
	v_and_b32_e32 v45, 0x7fff, v44
	v_cmp_lt_u16_e64 s[22:23], s35, v4
	v_cmp_gt_u16_e64 s[24:25], s36, v45
	s_and_b64 s[78:79], s[22:23], s[24:25]
	v_perm_b32 v33, v33, v27, s37
	s_mov_b64 s[26:27], -1
	s_and_b64 vcc, exec, s[20:21]
	s_xor_b64 s[78:79], s[78:79], -1
                                        ; implicit-def: $vgpr27
	s_cbranch_vccnz .LBB6_268
; %bb.263:                              ;   in Loop: Header=BB6_130 Depth=2
	v_mov_b32_e32 v27, v44
	s_and_saveexec_b64 s[88:89], s[78:79]
	s_cbranch_execz .LBB6_267
; %bb.264:                              ;   in Loop: Header=BB6_130 Depth=2
	s_or_b64 s[26:27], s[22:23], s[24:25]
	v_mov_b32_e32 v27, v31
	s_and_saveexec_b64 s[90:91], s[26:27]
; %bb.265:                              ;   in Loop: Header=BB6_130 Depth=2
	v_lshrrev_b32_e32 v4, 16, v33
	v_cmp_lt_u16_e32 vcc, s35, v45
	v_cmp_gt_f16_e64 s[26:27], v33, v4
	v_cndmask_b32_e64 v4, v4, v33, s[26:27]
	s_and_b64 vcc, s[22:23], vcc
	v_cndmask_b32_e32 v27, v4, v60, vcc
; %bb.266:                              ;   in Loop: Header=BB6_130 Depth=2
	s_or_b64 exec, exec, s[90:91]
.LBB6_267:                              ;   in Loop: Header=BB6_130 Depth=2
	s_or_b64 exec, exec, s[88:89]
	s_mov_b64 s[26:27], 0
.LBB6_268:                              ;   in Loop: Header=BB6_130 Depth=2
	s_andn2_b64 vcc, exec, s[26:27]
	s_cbranch_vccnz .LBB6_274
; %bb.269:                              ;   in Loop: Header=BB6_130 Depth=2
	s_and_saveexec_b64 s[26:27], s[78:79]
	s_cbranch_execz .LBB6_273
; %bb.270:                              ;   in Loop: Header=BB6_130 Depth=2
	s_or_b64 s[24:25], s[22:23], s[24:25]
	s_and_saveexec_b64 s[78:79], s[24:25]
; %bb.271:                              ;   in Loop: Header=BB6_130 Depth=2
	v_lshrrev_b32_e32 v4, 16, v33
	v_cmp_lt_u16_e32 vcc, s35, v45
	v_cmp_gt_f16_e64 s[24:25], v33, v4
	v_cndmask_b32_e64 v4, v33, v4, s[24:25]
	s_and_b64 vcc, s[22:23], vcc
	v_cndmask_b32_e32 v31, v4, v60, vcc
; %bb.272:                              ;   in Loop: Header=BB6_130 Depth=2
	s_or_b64 exec, exec, s[78:79]
	v_mov_b32_e32 v44, v31
.LBB6_273:                              ;   in Loop: Header=BB6_130 Depth=2
	s_or_b64 exec, exec, s[26:27]
	v_mov_b32_e32 v27, v44
.LBB6_274:                              ;   in Loop: Header=BB6_130 Depth=2
	v_and_b32_e32 v4, 0x7fff, v28
	v_and_b32_e32 v31, 0x7fff, v34
	v_cmp_lt_u16_e64 s[22:23], s35, v4
	v_cmp_gt_u16_e64 s[24:25], s36, v31
	s_and_b64 s[78:79], s[22:23], s[24:25]
	s_mov_b64 s[26:27], -1
	s_and_b64 vcc, exec, s[20:21]
	s_xor_b64 s[78:79], s[78:79], -1
                                        ; implicit-def: $vgpr33
	s_cbranch_vccnz .LBB6_280
; %bb.275:                              ;   in Loop: Header=BB6_130 Depth=2
	v_mov_b32_e32 v33, v34
	s_and_saveexec_b64 s[88:89], s[78:79]
	s_cbranch_execz .LBB6_279
; %bb.276:                              ;   in Loop: Header=BB6_130 Depth=2
	s_or_b64 s[26:27], s[22:23], s[24:25]
	v_mov_b32_e32 v33, v28
	s_and_saveexec_b64 s[90:91], s[26:27]
; %bb.277:                              ;   in Loop: Header=BB6_130 Depth=2
	v_cmp_lt_u16_e32 vcc, s35, v31
	v_cmp_gt_f16_e64 s[26:27], v28, v34
	v_cndmask_b32_e64 v4, v34, v28, s[26:27]
	s_and_b64 vcc, s[22:23], vcc
	v_cndmask_b32_e32 v33, v4, v60, vcc
; %bb.278:                              ;   in Loop: Header=BB6_130 Depth=2
	s_or_b64 exec, exec, s[90:91]
.LBB6_279:                              ;   in Loop: Header=BB6_130 Depth=2
	s_or_b64 exec, exec, s[88:89]
	s_mov_b64 s[26:27], 0
.LBB6_280:                              ;   in Loop: Header=BB6_130 Depth=2
	s_andn2_b64 vcc, exec, s[26:27]
	s_cbranch_vccnz .LBB6_286
; %bb.281:                              ;   in Loop: Header=BB6_130 Depth=2
	v_mov_b32_e32 v33, v34
	s_and_saveexec_b64 s[26:27], s[78:79]
	s_cbranch_execz .LBB6_285
; %bb.282:                              ;   in Loop: Header=BB6_130 Depth=2
	s_or_b64 s[24:25], s[22:23], s[24:25]
	v_mov_b32_e32 v33, v28
	s_and_saveexec_b64 s[78:79], s[24:25]
; %bb.283:                              ;   in Loop: Header=BB6_130 Depth=2
	v_cmp_lt_u16_e32 vcc, s35, v31
	v_cmp_gt_f16_e64 s[24:25], v28, v34
	v_cndmask_b32_e64 v4, v28, v34, s[24:25]
	s_and_b64 vcc, s[22:23], vcc
	v_cndmask_b32_e32 v33, v4, v60, vcc
; %bb.284:                              ;   in Loop: Header=BB6_130 Depth=2
	s_or_b64 exec, exec, s[78:79]
.LBB6_285:                              ;   in Loop: Header=BB6_130 Depth=2
	s_or_b64 exec, exec, s[26:27]
.LBB6_286:                              ;   in Loop: Header=BB6_130 Depth=2
	v_perm_b32 v31, v34, v28, s37
	v_lshrrev_b32_e32 v44, 16, v34
	v_lshrrev_b32_e32 v34, 16, v28
	v_and_b32_e32 v4, 0x7fff, v34
	v_and_b32_e32 v45, 0x7fff, v44
	v_cmp_lt_u16_e64 s[22:23], s35, v4
	v_cmp_gt_u16_e64 s[24:25], s36, v45
	s_and_b64 s[78:79], s[22:23], s[24:25]
	s_mov_b64 s[26:27], -1
	s_and_b64 vcc, exec, s[20:21]
	s_xor_b64 s[78:79], s[78:79], -1
                                        ; implicit-def: $vgpr28
	s_cbranch_vccnz .LBB6_292
; %bb.287:                              ;   in Loop: Header=BB6_130 Depth=2
	v_mov_b32_e32 v28, v44
	s_and_saveexec_b64 s[88:89], s[78:79]
	s_cbranch_execz .LBB6_291
; %bb.288:                              ;   in Loop: Header=BB6_130 Depth=2
	s_or_b64 s[26:27], s[22:23], s[24:25]
	v_mov_b32_e32 v28, v34
	s_and_saveexec_b64 s[90:91], s[26:27]
; %bb.289:                              ;   in Loop: Header=BB6_130 Depth=2
	v_lshrrev_b32_e32 v4, 16, v31
	v_cmp_lt_u16_e32 vcc, s35, v45
	v_cmp_gt_f16_e64 s[26:27], v31, v4
	v_cndmask_b32_e64 v4, v4, v31, s[26:27]
	s_and_b64 vcc, s[22:23], vcc
	v_cndmask_b32_e32 v28, v4, v60, vcc
; %bb.290:                              ;   in Loop: Header=BB6_130 Depth=2
	s_or_b64 exec, exec, s[90:91]
.LBB6_291:                              ;   in Loop: Header=BB6_130 Depth=2
	s_or_b64 exec, exec, s[88:89]
	s_mov_b64 s[26:27], 0
.LBB6_292:                              ;   in Loop: Header=BB6_130 Depth=2
	s_andn2_b64 vcc, exec, s[26:27]
	s_cbranch_vccnz .LBB6_298
; %bb.293:                              ;   in Loop: Header=BB6_130 Depth=2
	s_and_saveexec_b64 s[26:27], s[78:79]
	s_cbranch_execz .LBB6_297
; %bb.294:                              ;   in Loop: Header=BB6_130 Depth=2
	s_or_b64 s[24:25], s[22:23], s[24:25]
	s_and_saveexec_b64 s[78:79], s[24:25]
; %bb.295:                              ;   in Loop: Header=BB6_130 Depth=2
	v_lshrrev_b32_e32 v4, 16, v31
	v_cmp_lt_u16_e32 vcc, s35, v45
	v_cmp_gt_f16_e64 s[24:25], v31, v4
	v_cndmask_b32_e64 v4, v31, v4, s[24:25]
	s_and_b64 vcc, s[22:23], vcc
	v_cndmask_b32_e32 v34, v4, v60, vcc
; %bb.296:                              ;   in Loop: Header=BB6_130 Depth=2
	s_or_b64 exec, exec, s[78:79]
	v_mov_b32_e32 v44, v34
.LBB6_297:                              ;   in Loop: Header=BB6_130 Depth=2
	s_or_b64 exec, exec, s[26:27]
	v_mov_b32_e32 v28, v44
.LBB6_298:                              ;   in Loop: Header=BB6_130 Depth=2
	v_and_b32_e32 v4, 0x7fff, v29
	v_and_b32_e32 v44, 0x7fff, v35
	v_cmp_lt_u16_e64 s[22:23], s35, v4
	v_cmp_gt_u16_e64 s[24:25], s36, v44
	s_and_b64 s[78:79], s[22:23], s[24:25]
	v_perm_b32 v31, v35, v29, s38
	s_mov_b64 s[26:27], -1
	s_and_b64 vcc, exec, s[20:21]
	s_xor_b64 s[78:79], s[78:79], -1
                                        ; implicit-def: $vgpr34
	s_cbranch_vccnz .LBB6_304
; %bb.299:                              ;   in Loop: Header=BB6_130 Depth=2
	v_mov_b32_e32 v34, v35
	s_and_saveexec_b64 s[88:89], s[78:79]
	s_cbranch_execz .LBB6_303
; %bb.300:                              ;   in Loop: Header=BB6_130 Depth=2
	s_or_b64 s[26:27], s[22:23], s[24:25]
	v_mov_b32_e32 v34, v29
	s_and_saveexec_b64 s[90:91], s[26:27]
; %bb.301:                              ;   in Loop: Header=BB6_130 Depth=2
	v_lshrrev_b32_e32 v4, 16, v31
	v_cmp_lt_u16_e32 vcc, s35, v44
	v_cmp_gt_f16_e64 s[26:27], v31, v4
	v_cndmask_b32_e64 v4, v4, v31, s[26:27]
	s_and_b64 vcc, s[22:23], vcc
	v_cndmask_b32_e32 v34, v4, v60, vcc
; %bb.302:                              ;   in Loop: Header=BB6_130 Depth=2
	s_or_b64 exec, exec, s[90:91]
.LBB6_303:                              ;   in Loop: Header=BB6_130 Depth=2
	s_or_b64 exec, exec, s[88:89]
	s_mov_b64 s[26:27], 0
.LBB6_304:                              ;   in Loop: Header=BB6_130 Depth=2
	s_andn2_b64 vcc, exec, s[26:27]
	s_cbranch_vccnz .LBB6_310
; %bb.305:                              ;   in Loop: Header=BB6_130 Depth=2
	v_mov_b32_e32 v34, v35
	s_and_saveexec_b64 s[26:27], s[78:79]
	s_cbranch_execz .LBB6_309
; %bb.306:                              ;   in Loop: Header=BB6_130 Depth=2
	s_or_b64 s[24:25], s[22:23], s[24:25]
	v_mov_b32_e32 v34, v29
	s_and_saveexec_b64 s[78:79], s[24:25]
; %bb.307:                              ;   in Loop: Header=BB6_130 Depth=2
	v_lshrrev_b32_e32 v4, 16, v31
	v_cmp_lt_u16_e32 vcc, s35, v44
	v_cmp_gt_f16_e64 s[24:25], v31, v4
	v_cndmask_b32_e64 v4, v31, v4, s[24:25]
	s_and_b64 vcc, s[22:23], vcc
	v_cndmask_b32_e32 v34, v4, v60, vcc
; %bb.308:                              ;   in Loop: Header=BB6_130 Depth=2
	s_or_b64 exec, exec, s[78:79]
.LBB6_309:                              ;   in Loop: Header=BB6_130 Depth=2
	s_or_b64 exec, exec, s[26:27]
.LBB6_310:                              ;   in Loop: Header=BB6_130 Depth=2
	v_lshrrev_b32_e32 v31, 16, v29
	v_lshrrev_b32_e32 v44, 16, v35
	v_and_b32_e32 v4, 0x7fff, v31
	v_and_b32_e32 v45, 0x7fff, v44
	v_cmp_lt_u16_e64 s[22:23], s35, v4
	v_cmp_gt_u16_e64 s[24:25], s36, v45
	s_and_b64 s[78:79], s[22:23], s[24:25]
	v_perm_b32 v35, v35, v29, s37
	s_mov_b64 s[26:27], -1
	s_and_b64 vcc, exec, s[20:21]
	s_xor_b64 s[78:79], s[78:79], -1
                                        ; implicit-def: $vgpr29
	s_cbranch_vccnz .LBB6_316
; %bb.311:                              ;   in Loop: Header=BB6_130 Depth=2
	v_mov_b32_e32 v29, v44
	s_and_saveexec_b64 s[88:89], s[78:79]
	s_cbranch_execz .LBB6_315
; %bb.312:                              ;   in Loop: Header=BB6_130 Depth=2
	s_or_b64 s[26:27], s[22:23], s[24:25]
	v_mov_b32_e32 v29, v31
	s_and_saveexec_b64 s[90:91], s[26:27]
; %bb.313:                              ;   in Loop: Header=BB6_130 Depth=2
	v_lshrrev_b32_e32 v4, 16, v35
	v_cmp_lt_u16_e32 vcc, s35, v45
	v_cmp_gt_f16_e64 s[26:27], v35, v4
	v_cndmask_b32_e64 v4, v4, v35, s[26:27]
	s_and_b64 vcc, s[22:23], vcc
	v_cndmask_b32_e32 v29, v4, v60, vcc
; %bb.314:                              ;   in Loop: Header=BB6_130 Depth=2
	s_or_b64 exec, exec, s[90:91]
.LBB6_315:                              ;   in Loop: Header=BB6_130 Depth=2
	s_or_b64 exec, exec, s[88:89]
	s_mov_b64 s[26:27], 0
.LBB6_316:                              ;   in Loop: Header=BB6_130 Depth=2
	s_andn2_b64 vcc, exec, s[26:27]
	s_cbranch_vccnz .LBB6_322
; %bb.317:                              ;   in Loop: Header=BB6_130 Depth=2
	s_and_saveexec_b64 s[26:27], s[78:79]
	s_cbranch_execz .LBB6_321
; %bb.318:                              ;   in Loop: Header=BB6_130 Depth=2
	s_or_b64 s[24:25], s[22:23], s[24:25]
	s_and_saveexec_b64 s[78:79], s[24:25]
; %bb.319:                              ;   in Loop: Header=BB6_130 Depth=2
	v_lshrrev_b32_e32 v4, 16, v35
	v_cmp_lt_u16_e32 vcc, s35, v45
	v_cmp_gt_f16_e64 s[24:25], v35, v4
	v_cndmask_b32_e64 v4, v35, v4, s[24:25]
	s_and_b64 vcc, s[22:23], vcc
	v_cndmask_b32_e32 v31, v4, v60, vcc
; %bb.320:                              ;   in Loop: Header=BB6_130 Depth=2
	s_or_b64 exec, exec, s[78:79]
	v_mov_b32_e32 v44, v31
.LBB6_321:                              ;   in Loop: Header=BB6_130 Depth=2
	s_or_b64 exec, exec, s[26:27]
	v_mov_b32_e32 v29, v44
.LBB6_322:                              ;   in Loop: Header=BB6_130 Depth=2
	v_and_b32_e32 v4, 0x7fff, v18
	s_waitcnt vmcnt(1)
	v_and_b32_e32 v31, 0x7fff, v22
	v_cmp_lt_u16_e64 s[22:23], s35, v4
	v_cmp_gt_u16_e64 s[24:25], s36, v31
	s_and_b64 s[78:79], s[22:23], s[24:25]
	s_mov_b64 s[26:27], -1
	s_and_b64 vcc, exec, s[20:21]
	s_xor_b64 s[78:79], s[78:79], -1
                                        ; implicit-def: $vgpr35
	s_cbranch_vccnz .LBB6_328
; %bb.323:                              ;   in Loop: Header=BB6_130 Depth=2
	v_mov_b32_e32 v35, v22
	s_and_saveexec_b64 s[88:89], s[78:79]
	s_cbranch_execz .LBB6_327
; %bb.324:                              ;   in Loop: Header=BB6_130 Depth=2
	s_or_b64 s[26:27], s[22:23], s[24:25]
	v_mov_b32_e32 v35, v18
	s_and_saveexec_b64 s[90:91], s[26:27]
; %bb.325:                              ;   in Loop: Header=BB6_130 Depth=2
	v_cmp_lt_u16_e32 vcc, s35, v31
	v_cmp_gt_f16_e64 s[26:27], v18, v22
	v_cndmask_b32_e64 v4, v22, v18, s[26:27]
	s_and_b64 vcc, s[22:23], vcc
	v_cndmask_b32_e32 v35, v4, v60, vcc
; %bb.326:                              ;   in Loop: Header=BB6_130 Depth=2
	s_or_b64 exec, exec, s[90:91]
.LBB6_327:                              ;   in Loop: Header=BB6_130 Depth=2
	s_or_b64 exec, exec, s[88:89]
	s_mov_b64 s[26:27], 0
.LBB6_328:                              ;   in Loop: Header=BB6_130 Depth=2
	s_andn2_b64 vcc, exec, s[26:27]
	s_cbranch_vccnz .LBB6_334
; %bb.329:                              ;   in Loop: Header=BB6_130 Depth=2
	v_mov_b32_e32 v35, v22
	s_and_saveexec_b64 s[26:27], s[78:79]
	s_cbranch_execz .LBB6_333
; %bb.330:                              ;   in Loop: Header=BB6_130 Depth=2
	s_or_b64 s[24:25], s[22:23], s[24:25]
	v_mov_b32_e32 v35, v18
	s_and_saveexec_b64 s[78:79], s[24:25]
; %bb.331:                              ;   in Loop: Header=BB6_130 Depth=2
	v_cmp_lt_u16_e32 vcc, s35, v31
	v_cmp_gt_f16_e64 s[24:25], v18, v22
	v_cndmask_b32_e64 v4, v18, v22, s[24:25]
	s_and_b64 vcc, s[22:23], vcc
	v_cndmask_b32_e32 v35, v4, v60, vcc
; %bb.332:                              ;   in Loop: Header=BB6_130 Depth=2
	s_or_b64 exec, exec, s[78:79]
.LBB6_333:                              ;   in Loop: Header=BB6_130 Depth=2
	s_or_b64 exec, exec, s[26:27]
.LBB6_334:                              ;   in Loop: Header=BB6_130 Depth=2
	v_perm_b32 v31, v22, v18, s37
	v_lshrrev_b32_e32 v44, 16, v22
	v_lshrrev_b32_e32 v22, 16, v18
	v_and_b32_e32 v4, 0x7fff, v22
	v_and_b32_e32 v45, 0x7fff, v44
	v_cmp_lt_u16_e64 s[22:23], s35, v4
	v_cmp_gt_u16_e64 s[24:25], s36, v45
	s_and_b64 s[78:79], s[22:23], s[24:25]
	s_mov_b64 s[26:27], -1
	s_and_b64 vcc, exec, s[20:21]
	s_xor_b64 s[78:79], s[78:79], -1
                                        ; implicit-def: $vgpr18
	s_cbranch_vccnz .LBB6_340
; %bb.335:                              ;   in Loop: Header=BB6_130 Depth=2
	v_mov_b32_e32 v18, v44
	s_and_saveexec_b64 s[88:89], s[78:79]
	s_cbranch_execz .LBB6_339
; %bb.336:                              ;   in Loop: Header=BB6_130 Depth=2
	s_or_b64 s[26:27], s[22:23], s[24:25]
	v_mov_b32_e32 v18, v22
	s_and_saveexec_b64 s[90:91], s[26:27]
; %bb.337:                              ;   in Loop: Header=BB6_130 Depth=2
	v_lshrrev_b32_e32 v4, 16, v31
	v_cmp_lt_u16_e32 vcc, s35, v45
	v_cmp_gt_f16_e64 s[26:27], v31, v4
	v_cndmask_b32_e64 v4, v4, v31, s[26:27]
	s_and_b64 vcc, s[22:23], vcc
	v_cndmask_b32_e32 v18, v4, v60, vcc
; %bb.338:                              ;   in Loop: Header=BB6_130 Depth=2
	s_or_b64 exec, exec, s[90:91]
.LBB6_339:                              ;   in Loop: Header=BB6_130 Depth=2
	s_or_b64 exec, exec, s[88:89]
	s_mov_b64 s[26:27], 0
.LBB6_340:                              ;   in Loop: Header=BB6_130 Depth=2
	s_andn2_b64 vcc, exec, s[26:27]
	s_cbranch_vccnz .LBB6_346
; %bb.341:                              ;   in Loop: Header=BB6_130 Depth=2
	s_and_saveexec_b64 s[26:27], s[78:79]
	s_cbranch_execz .LBB6_345
; %bb.342:                              ;   in Loop: Header=BB6_130 Depth=2
	s_or_b64 s[24:25], s[22:23], s[24:25]
	s_and_saveexec_b64 s[78:79], s[24:25]
; %bb.343:                              ;   in Loop: Header=BB6_130 Depth=2
	v_lshrrev_b32_e32 v4, 16, v31
	v_cmp_lt_u16_e32 vcc, s35, v45
	v_cmp_gt_f16_e64 s[24:25], v31, v4
	v_cndmask_b32_e64 v4, v31, v4, s[24:25]
	s_and_b64 vcc, s[22:23], vcc
	v_cndmask_b32_e32 v22, v4, v60, vcc
; %bb.344:                              ;   in Loop: Header=BB6_130 Depth=2
	s_or_b64 exec, exec, s[78:79]
	v_mov_b32_e32 v44, v22
.LBB6_345:                              ;   in Loop: Header=BB6_130 Depth=2
	s_or_b64 exec, exec, s[26:27]
	v_mov_b32_e32 v18, v44
.LBB6_346:                              ;   in Loop: Header=BB6_130 Depth=2
	v_and_b32_e32 v4, 0x7fff, v19
	v_and_b32_e32 v44, 0x7fff, v23
	v_cmp_lt_u16_e64 s[22:23], s35, v4
	v_cmp_gt_u16_e64 s[24:25], s36, v44
	s_and_b64 s[78:79], s[22:23], s[24:25]
	v_perm_b32 v31, v23, v19, s38
	s_mov_b64 s[26:27], -1
	s_and_b64 vcc, exec, s[20:21]
	s_xor_b64 s[78:79], s[78:79], -1
                                        ; implicit-def: $vgpr22
	s_cbranch_vccnz .LBB6_352
; %bb.347:                              ;   in Loop: Header=BB6_130 Depth=2
	v_mov_b32_e32 v22, v23
	s_and_saveexec_b64 s[88:89], s[78:79]
	s_cbranch_execz .LBB6_351
; %bb.348:                              ;   in Loop: Header=BB6_130 Depth=2
	s_or_b64 s[26:27], s[22:23], s[24:25]
	v_mov_b32_e32 v22, v19
	s_and_saveexec_b64 s[90:91], s[26:27]
; %bb.349:                              ;   in Loop: Header=BB6_130 Depth=2
	v_lshrrev_b32_e32 v4, 16, v31
	v_cmp_lt_u16_e32 vcc, s35, v44
	v_cmp_gt_f16_e64 s[26:27], v31, v4
	v_cndmask_b32_e64 v4, v4, v31, s[26:27]
	s_and_b64 vcc, s[22:23], vcc
	v_cndmask_b32_e32 v22, v4, v60, vcc
; %bb.350:                              ;   in Loop: Header=BB6_130 Depth=2
	s_or_b64 exec, exec, s[90:91]
.LBB6_351:                              ;   in Loop: Header=BB6_130 Depth=2
	s_or_b64 exec, exec, s[88:89]
	s_mov_b64 s[26:27], 0
.LBB6_352:                              ;   in Loop: Header=BB6_130 Depth=2
	s_andn2_b64 vcc, exec, s[26:27]
	s_cbranch_vccnz .LBB6_358
; %bb.353:                              ;   in Loop: Header=BB6_130 Depth=2
	v_mov_b32_e32 v22, v23
	s_and_saveexec_b64 s[26:27], s[78:79]
	s_cbranch_execz .LBB6_357
; %bb.354:                              ;   in Loop: Header=BB6_130 Depth=2
	s_or_b64 s[24:25], s[22:23], s[24:25]
	v_mov_b32_e32 v22, v19
	s_and_saveexec_b64 s[78:79], s[24:25]
; %bb.355:                              ;   in Loop: Header=BB6_130 Depth=2
	v_lshrrev_b32_e32 v4, 16, v31
	v_cmp_lt_u16_e32 vcc, s35, v44
	v_cmp_gt_f16_e64 s[24:25], v31, v4
	v_cndmask_b32_e64 v4, v31, v4, s[24:25]
	s_and_b64 vcc, s[22:23], vcc
	v_cndmask_b32_e32 v22, v4, v60, vcc
; %bb.356:                              ;   in Loop: Header=BB6_130 Depth=2
	s_or_b64 exec, exec, s[78:79]
.LBB6_357:                              ;   in Loop: Header=BB6_130 Depth=2
	s_or_b64 exec, exec, s[26:27]
.LBB6_358:                              ;   in Loop: Header=BB6_130 Depth=2
	v_lshrrev_b32_e32 v31, 16, v19
	v_lshrrev_b32_e32 v44, 16, v23
	v_and_b32_e32 v4, 0x7fff, v31
	v_and_b32_e32 v45, 0x7fff, v44
	v_cmp_lt_u16_e64 s[22:23], s35, v4
	v_cmp_gt_u16_e64 s[24:25], s36, v45
	s_and_b64 s[78:79], s[22:23], s[24:25]
	v_perm_b32 v23, v23, v19, s37
	s_mov_b64 s[26:27], -1
	s_and_b64 vcc, exec, s[20:21]
	s_xor_b64 s[78:79], s[78:79], -1
                                        ; implicit-def: $vgpr19
	s_cbranch_vccnz .LBB6_364
; %bb.359:                              ;   in Loop: Header=BB6_130 Depth=2
	v_mov_b32_e32 v19, v44
	s_and_saveexec_b64 s[88:89], s[78:79]
	s_cbranch_execz .LBB6_363
; %bb.360:                              ;   in Loop: Header=BB6_130 Depth=2
	s_or_b64 s[26:27], s[22:23], s[24:25]
	v_mov_b32_e32 v19, v31
	s_and_saveexec_b64 s[90:91], s[26:27]
; %bb.361:                              ;   in Loop: Header=BB6_130 Depth=2
	v_lshrrev_b32_e32 v4, 16, v23
	v_cmp_lt_u16_e32 vcc, s35, v45
	v_cmp_gt_f16_e64 s[26:27], v23, v4
	v_cndmask_b32_e64 v4, v4, v23, s[26:27]
	s_and_b64 vcc, s[22:23], vcc
	v_cndmask_b32_e32 v19, v4, v60, vcc
; %bb.362:                              ;   in Loop: Header=BB6_130 Depth=2
	s_or_b64 exec, exec, s[90:91]
.LBB6_363:                              ;   in Loop: Header=BB6_130 Depth=2
	s_or_b64 exec, exec, s[88:89]
	s_mov_b64 s[26:27], 0
.LBB6_364:                              ;   in Loop: Header=BB6_130 Depth=2
	s_andn2_b64 vcc, exec, s[26:27]
	s_cbranch_vccnz .LBB6_370
; %bb.365:                              ;   in Loop: Header=BB6_130 Depth=2
	s_and_saveexec_b64 s[26:27], s[78:79]
	s_cbranch_execz .LBB6_369
; %bb.366:                              ;   in Loop: Header=BB6_130 Depth=2
	s_or_b64 s[24:25], s[22:23], s[24:25]
	s_and_saveexec_b64 s[78:79], s[24:25]
; %bb.367:                              ;   in Loop: Header=BB6_130 Depth=2
	v_lshrrev_b32_e32 v4, 16, v23
	v_cmp_lt_u16_e32 vcc, s35, v45
	v_cmp_gt_f16_e64 s[24:25], v23, v4
	v_cndmask_b32_e64 v4, v23, v4, s[24:25]
	s_and_b64 vcc, s[22:23], vcc
	v_cndmask_b32_e32 v31, v4, v60, vcc
; %bb.368:                              ;   in Loop: Header=BB6_130 Depth=2
	s_or_b64 exec, exec, s[78:79]
	v_mov_b32_e32 v44, v31
.LBB6_369:                              ;   in Loop: Header=BB6_130 Depth=2
	s_or_b64 exec, exec, s[26:27]
	v_mov_b32_e32 v19, v44
.LBB6_370:                              ;   in Loop: Header=BB6_130 Depth=2
	v_and_b32_e32 v4, 0x7fff, v20
	v_and_b32_e32 v31, 0x7fff, v24
	v_cmp_lt_u16_e64 s[22:23], s35, v4
	v_cmp_gt_u16_e64 s[24:25], s36, v31
	s_and_b64 s[78:79], s[22:23], s[24:25]
	s_mov_b64 s[26:27], -1
	s_and_b64 vcc, exec, s[20:21]
	s_xor_b64 s[78:79], s[78:79], -1
                                        ; implicit-def: $vgpr23
	s_cbranch_vccnz .LBB6_376
; %bb.371:                              ;   in Loop: Header=BB6_130 Depth=2
	v_mov_b32_e32 v23, v24
	s_and_saveexec_b64 s[88:89], s[78:79]
	s_cbranch_execz .LBB6_375
; %bb.372:                              ;   in Loop: Header=BB6_130 Depth=2
	s_or_b64 s[26:27], s[22:23], s[24:25]
	v_mov_b32_e32 v23, v20
	s_and_saveexec_b64 s[90:91], s[26:27]
; %bb.373:                              ;   in Loop: Header=BB6_130 Depth=2
	v_cmp_lt_u16_e32 vcc, s35, v31
	v_cmp_gt_f16_e64 s[26:27], v20, v24
	v_cndmask_b32_e64 v4, v24, v20, s[26:27]
	s_and_b64 vcc, s[22:23], vcc
	v_cndmask_b32_e32 v23, v4, v60, vcc
; %bb.374:                              ;   in Loop: Header=BB6_130 Depth=2
	s_or_b64 exec, exec, s[90:91]
.LBB6_375:                              ;   in Loop: Header=BB6_130 Depth=2
	s_or_b64 exec, exec, s[88:89]
	s_mov_b64 s[26:27], 0
.LBB6_376:                              ;   in Loop: Header=BB6_130 Depth=2
	s_andn2_b64 vcc, exec, s[26:27]
	s_cbranch_vccnz .LBB6_382
; %bb.377:                              ;   in Loop: Header=BB6_130 Depth=2
	v_mov_b32_e32 v23, v24
	s_and_saveexec_b64 s[26:27], s[78:79]
	s_cbranch_execz .LBB6_381
; %bb.378:                              ;   in Loop: Header=BB6_130 Depth=2
	s_or_b64 s[24:25], s[22:23], s[24:25]
	v_mov_b32_e32 v23, v20
	s_and_saveexec_b64 s[78:79], s[24:25]
; %bb.379:                              ;   in Loop: Header=BB6_130 Depth=2
	v_cmp_lt_u16_e32 vcc, s35, v31
	v_cmp_gt_f16_e64 s[24:25], v20, v24
	v_cndmask_b32_e64 v4, v20, v24, s[24:25]
	s_and_b64 vcc, s[22:23], vcc
	v_cndmask_b32_e32 v23, v4, v60, vcc
; %bb.380:                              ;   in Loop: Header=BB6_130 Depth=2
	s_or_b64 exec, exec, s[78:79]
.LBB6_381:                              ;   in Loop: Header=BB6_130 Depth=2
	s_or_b64 exec, exec, s[26:27]
.LBB6_382:                              ;   in Loop: Header=BB6_130 Depth=2
	v_perm_b32 v31, v24, v20, s37
	v_lshrrev_b32_e32 v44, 16, v24
	v_lshrrev_b32_e32 v24, 16, v20
	v_and_b32_e32 v4, 0x7fff, v24
	v_and_b32_e32 v45, 0x7fff, v44
	v_cmp_lt_u16_e64 s[22:23], s35, v4
	v_cmp_gt_u16_e64 s[24:25], s36, v45
	s_and_b64 s[78:79], s[22:23], s[24:25]
	s_mov_b64 s[26:27], -1
	s_and_b64 vcc, exec, s[20:21]
	s_xor_b64 s[78:79], s[78:79], -1
                                        ; implicit-def: $vgpr20
	s_cbranch_vccnz .LBB6_388
; %bb.383:                              ;   in Loop: Header=BB6_130 Depth=2
	v_mov_b32_e32 v20, v44
	s_and_saveexec_b64 s[88:89], s[78:79]
	s_cbranch_execz .LBB6_387
; %bb.384:                              ;   in Loop: Header=BB6_130 Depth=2
	s_or_b64 s[26:27], s[22:23], s[24:25]
	v_mov_b32_e32 v20, v24
	s_and_saveexec_b64 s[90:91], s[26:27]
; %bb.385:                              ;   in Loop: Header=BB6_130 Depth=2
	v_lshrrev_b32_e32 v4, 16, v31
	v_cmp_lt_u16_e32 vcc, s35, v45
	v_cmp_gt_f16_e64 s[26:27], v31, v4
	v_cndmask_b32_e64 v4, v4, v31, s[26:27]
	s_and_b64 vcc, s[22:23], vcc
	v_cndmask_b32_e32 v20, v4, v60, vcc
; %bb.386:                              ;   in Loop: Header=BB6_130 Depth=2
	s_or_b64 exec, exec, s[90:91]
.LBB6_387:                              ;   in Loop: Header=BB6_130 Depth=2
	s_or_b64 exec, exec, s[88:89]
	s_mov_b64 s[26:27], 0
.LBB6_388:                              ;   in Loop: Header=BB6_130 Depth=2
	s_andn2_b64 vcc, exec, s[26:27]
	s_cbranch_vccnz .LBB6_394
; %bb.389:                              ;   in Loop: Header=BB6_130 Depth=2
	s_and_saveexec_b64 s[26:27], s[78:79]
	s_cbranch_execz .LBB6_393
; %bb.390:                              ;   in Loop: Header=BB6_130 Depth=2
	s_or_b64 s[24:25], s[22:23], s[24:25]
	s_and_saveexec_b64 s[78:79], s[24:25]
; %bb.391:                              ;   in Loop: Header=BB6_130 Depth=2
	v_lshrrev_b32_e32 v4, 16, v31
	v_cmp_lt_u16_e32 vcc, s35, v45
	v_cmp_gt_f16_e64 s[24:25], v31, v4
	v_cndmask_b32_e64 v4, v31, v4, s[24:25]
	s_and_b64 vcc, s[22:23], vcc
	v_cndmask_b32_e32 v24, v4, v60, vcc
; %bb.392:                              ;   in Loop: Header=BB6_130 Depth=2
	s_or_b64 exec, exec, s[78:79]
	v_mov_b32_e32 v44, v24
.LBB6_393:                              ;   in Loop: Header=BB6_130 Depth=2
	s_or_b64 exec, exec, s[26:27]
	v_mov_b32_e32 v20, v44
.LBB6_394:                              ;   in Loop: Header=BB6_130 Depth=2
	v_and_b32_e32 v4, 0x7fff, v21
	v_and_b32_e32 v44, 0x7fff, v25
	v_cmp_lt_u16_e64 s[22:23], s35, v4
	v_cmp_gt_u16_e64 s[24:25], s36, v44
	s_and_b64 s[78:79], s[22:23], s[24:25]
	v_perm_b32 v31, v25, v21, s38
	s_mov_b64 s[26:27], -1
	s_and_b64 vcc, exec, s[20:21]
	s_xor_b64 s[78:79], s[78:79], -1
                                        ; implicit-def: $vgpr24
	s_cbranch_vccnz .LBB6_400
; %bb.395:                              ;   in Loop: Header=BB6_130 Depth=2
	v_mov_b32_e32 v24, v25
	s_and_saveexec_b64 s[88:89], s[78:79]
	s_cbranch_execz .LBB6_399
; %bb.396:                              ;   in Loop: Header=BB6_130 Depth=2
	s_or_b64 s[26:27], s[22:23], s[24:25]
	v_mov_b32_e32 v24, v21
	s_and_saveexec_b64 s[90:91], s[26:27]
; %bb.397:                              ;   in Loop: Header=BB6_130 Depth=2
	v_lshrrev_b32_e32 v4, 16, v31
	v_cmp_lt_u16_e32 vcc, s35, v44
	v_cmp_gt_f16_e64 s[26:27], v31, v4
	v_cndmask_b32_e64 v4, v4, v31, s[26:27]
	s_and_b64 vcc, s[22:23], vcc
	v_cndmask_b32_e32 v24, v4, v60, vcc
; %bb.398:                              ;   in Loop: Header=BB6_130 Depth=2
	s_or_b64 exec, exec, s[90:91]
.LBB6_399:                              ;   in Loop: Header=BB6_130 Depth=2
	s_or_b64 exec, exec, s[88:89]
	s_mov_b64 s[26:27], 0
.LBB6_400:                              ;   in Loop: Header=BB6_130 Depth=2
	s_andn2_b64 vcc, exec, s[26:27]
	s_cbranch_vccnz .LBB6_406
; %bb.401:                              ;   in Loop: Header=BB6_130 Depth=2
	v_mov_b32_e32 v24, v25
	s_and_saveexec_b64 s[26:27], s[78:79]
	s_cbranch_execz .LBB6_405
; %bb.402:                              ;   in Loop: Header=BB6_130 Depth=2
	s_or_b64 s[24:25], s[22:23], s[24:25]
	v_mov_b32_e32 v24, v21
	s_and_saveexec_b64 s[78:79], s[24:25]
; %bb.403:                              ;   in Loop: Header=BB6_130 Depth=2
	v_lshrrev_b32_e32 v4, 16, v31
	v_cmp_lt_u16_e32 vcc, s35, v44
	v_cmp_gt_f16_e64 s[24:25], v31, v4
	v_cndmask_b32_e64 v4, v31, v4, s[24:25]
	s_and_b64 vcc, s[22:23], vcc
	v_cndmask_b32_e32 v24, v4, v60, vcc
; %bb.404:                              ;   in Loop: Header=BB6_130 Depth=2
	s_or_b64 exec, exec, s[78:79]
.LBB6_405:                              ;   in Loop: Header=BB6_130 Depth=2
	s_or_b64 exec, exec, s[26:27]
.LBB6_406:                              ;   in Loop: Header=BB6_130 Depth=2
	v_lshrrev_b32_e32 v31, 16, v21
	v_lshrrev_b32_e32 v44, 16, v25
	v_and_b32_e32 v4, 0x7fff, v31
	v_and_b32_e32 v45, 0x7fff, v44
	v_cmp_lt_u16_e64 s[22:23], s35, v4
	v_cmp_gt_u16_e64 s[24:25], s36, v45
	s_and_b64 s[78:79], s[22:23], s[24:25]
	v_perm_b32 v25, v25, v21, s37
	s_mov_b64 s[26:27], -1
	s_and_b64 vcc, exec, s[20:21]
	s_xor_b64 s[78:79], s[78:79], -1
                                        ; implicit-def: $vgpr21
	s_cbranch_vccnz .LBB6_412
; %bb.407:                              ;   in Loop: Header=BB6_130 Depth=2
	v_mov_b32_e32 v21, v44
	s_and_saveexec_b64 s[88:89], s[78:79]
	s_cbranch_execz .LBB6_411
; %bb.408:                              ;   in Loop: Header=BB6_130 Depth=2
	s_or_b64 s[26:27], s[22:23], s[24:25]
	v_mov_b32_e32 v21, v31
	s_and_saveexec_b64 s[90:91], s[26:27]
; %bb.409:                              ;   in Loop: Header=BB6_130 Depth=2
	v_lshrrev_b32_e32 v4, 16, v25
	v_cmp_lt_u16_e32 vcc, s35, v45
	v_cmp_gt_f16_e64 s[26:27], v25, v4
	v_cndmask_b32_e64 v4, v4, v25, s[26:27]
	s_and_b64 vcc, s[22:23], vcc
	v_cndmask_b32_e32 v21, v4, v60, vcc
; %bb.410:                              ;   in Loop: Header=BB6_130 Depth=2
	s_or_b64 exec, exec, s[90:91]
.LBB6_411:                              ;   in Loop: Header=BB6_130 Depth=2
	s_or_b64 exec, exec, s[88:89]
	s_mov_b64 s[26:27], 0
.LBB6_412:                              ;   in Loop: Header=BB6_130 Depth=2
	s_andn2_b64 vcc, exec, s[26:27]
	s_cbranch_vccnz .LBB6_418
; %bb.413:                              ;   in Loop: Header=BB6_130 Depth=2
	s_and_saveexec_b64 s[26:27], s[78:79]
	s_cbranch_execz .LBB6_417
; %bb.414:                              ;   in Loop: Header=BB6_130 Depth=2
	s_or_b64 s[24:25], s[22:23], s[24:25]
	s_and_saveexec_b64 s[78:79], s[24:25]
; %bb.415:                              ;   in Loop: Header=BB6_130 Depth=2
	v_lshrrev_b32_e32 v4, 16, v25
	v_cmp_lt_u16_e32 vcc, s35, v45
	v_cmp_gt_f16_e64 s[24:25], v25, v4
	v_cndmask_b32_e64 v4, v25, v4, s[24:25]
	s_and_b64 vcc, s[22:23], vcc
	v_cndmask_b32_e32 v31, v4, v60, vcc
; %bb.416:                              ;   in Loop: Header=BB6_130 Depth=2
	s_or_b64 exec, exec, s[78:79]
	v_mov_b32_e32 v44, v31
.LBB6_417:                              ;   in Loop: Header=BB6_130 Depth=2
	s_or_b64 exec, exec, s[26:27]
	v_mov_b32_e32 v21, v44
.LBB6_418:                              ;   in Loop: Header=BB6_130 Depth=2
	v_and_b32_e32 v4, 0x7fff, v10
	s_waitcnt vmcnt(0)
	v_and_b32_e32 v31, 0x7fff, v14
	v_cmp_lt_u16_e64 s[22:23], s35, v4
	v_cmp_gt_u16_e64 s[24:25], s36, v31
	s_and_b64 s[78:79], s[22:23], s[24:25]
	s_mov_b64 s[26:27], -1
	s_and_b64 vcc, exec, s[20:21]
	s_xor_b64 s[78:79], s[78:79], -1
                                        ; implicit-def: $vgpr25
	s_cbranch_vccnz .LBB6_424
; %bb.419:                              ;   in Loop: Header=BB6_130 Depth=2
	v_mov_b32_e32 v25, v14
	s_and_saveexec_b64 s[88:89], s[78:79]
	s_cbranch_execz .LBB6_423
; %bb.420:                              ;   in Loop: Header=BB6_130 Depth=2
	s_or_b64 s[26:27], s[22:23], s[24:25]
	v_mov_b32_e32 v25, v10
	s_and_saveexec_b64 s[90:91], s[26:27]
; %bb.421:                              ;   in Loop: Header=BB6_130 Depth=2
	v_cmp_lt_u16_e32 vcc, s35, v31
	v_cmp_gt_f16_e64 s[26:27], v10, v14
	v_cndmask_b32_e64 v4, v14, v10, s[26:27]
	s_and_b64 vcc, s[22:23], vcc
	v_cndmask_b32_e32 v25, v4, v60, vcc
; %bb.422:                              ;   in Loop: Header=BB6_130 Depth=2
	s_or_b64 exec, exec, s[90:91]
.LBB6_423:                              ;   in Loop: Header=BB6_130 Depth=2
	s_or_b64 exec, exec, s[88:89]
	s_mov_b64 s[26:27], 0
.LBB6_424:                              ;   in Loop: Header=BB6_130 Depth=2
	s_andn2_b64 vcc, exec, s[26:27]
	s_cbranch_vccnz .LBB6_430
; %bb.425:                              ;   in Loop: Header=BB6_130 Depth=2
	v_mov_b32_e32 v25, v14
	s_and_saveexec_b64 s[26:27], s[78:79]
	s_cbranch_execz .LBB6_429
; %bb.426:                              ;   in Loop: Header=BB6_130 Depth=2
	s_or_b64 s[24:25], s[22:23], s[24:25]
	v_mov_b32_e32 v25, v10
	s_and_saveexec_b64 s[78:79], s[24:25]
; %bb.427:                              ;   in Loop: Header=BB6_130 Depth=2
	v_cmp_lt_u16_e32 vcc, s35, v31
	v_cmp_gt_f16_e64 s[24:25], v10, v14
	v_cndmask_b32_e64 v4, v10, v14, s[24:25]
	s_and_b64 vcc, s[22:23], vcc
	v_cndmask_b32_e32 v25, v4, v60, vcc
; %bb.428:                              ;   in Loop: Header=BB6_130 Depth=2
	s_or_b64 exec, exec, s[78:79]
.LBB6_429:                              ;   in Loop: Header=BB6_130 Depth=2
	s_or_b64 exec, exec, s[26:27]
.LBB6_430:                              ;   in Loop: Header=BB6_130 Depth=2
	v_perm_b32 v31, v14, v10, s37
	v_lshrrev_b32_e32 v44, 16, v14
	v_lshrrev_b32_e32 v14, 16, v10
	v_and_b32_e32 v4, 0x7fff, v14
	v_and_b32_e32 v45, 0x7fff, v44
	v_cmp_lt_u16_e64 s[22:23], s35, v4
	v_cmp_gt_u16_e64 s[24:25], s36, v45
	s_and_b64 s[78:79], s[22:23], s[24:25]
	s_mov_b64 s[26:27], -1
	s_and_b64 vcc, exec, s[20:21]
	s_xor_b64 s[78:79], s[78:79], -1
                                        ; implicit-def: $vgpr10
	s_cbranch_vccnz .LBB6_436
; %bb.431:                              ;   in Loop: Header=BB6_130 Depth=2
	v_mov_b32_e32 v10, v44
	s_and_saveexec_b64 s[88:89], s[78:79]
	s_cbranch_execz .LBB6_435
; %bb.432:                              ;   in Loop: Header=BB6_130 Depth=2
	s_or_b64 s[26:27], s[22:23], s[24:25]
	v_mov_b32_e32 v10, v14
	s_and_saveexec_b64 s[90:91], s[26:27]
; %bb.433:                              ;   in Loop: Header=BB6_130 Depth=2
	v_lshrrev_b32_e32 v4, 16, v31
	v_cmp_lt_u16_e32 vcc, s35, v45
	v_cmp_gt_f16_e64 s[26:27], v31, v4
	v_cndmask_b32_e64 v4, v4, v31, s[26:27]
	s_and_b64 vcc, s[22:23], vcc
	v_cndmask_b32_e32 v10, v4, v60, vcc
; %bb.434:                              ;   in Loop: Header=BB6_130 Depth=2
	s_or_b64 exec, exec, s[90:91]
.LBB6_435:                              ;   in Loop: Header=BB6_130 Depth=2
	s_or_b64 exec, exec, s[88:89]
	s_mov_b64 s[26:27], 0
.LBB6_436:                              ;   in Loop: Header=BB6_130 Depth=2
	s_andn2_b64 vcc, exec, s[26:27]
	s_cbranch_vccnz .LBB6_442
; %bb.437:                              ;   in Loop: Header=BB6_130 Depth=2
	s_and_saveexec_b64 s[26:27], s[78:79]
	s_cbranch_execz .LBB6_441
; %bb.438:                              ;   in Loop: Header=BB6_130 Depth=2
	s_or_b64 s[24:25], s[22:23], s[24:25]
	s_and_saveexec_b64 s[78:79], s[24:25]
; %bb.439:                              ;   in Loop: Header=BB6_130 Depth=2
	v_lshrrev_b32_e32 v4, 16, v31
	v_cmp_lt_u16_e32 vcc, s35, v45
	v_cmp_gt_f16_e64 s[24:25], v31, v4
	v_cndmask_b32_e64 v4, v31, v4, s[24:25]
	s_and_b64 vcc, s[22:23], vcc
	v_cndmask_b32_e32 v14, v4, v60, vcc
; %bb.440:                              ;   in Loop: Header=BB6_130 Depth=2
	s_or_b64 exec, exec, s[78:79]
	v_mov_b32_e32 v44, v14
.LBB6_441:                              ;   in Loop: Header=BB6_130 Depth=2
	s_or_b64 exec, exec, s[26:27]
	v_mov_b32_e32 v10, v44
.LBB6_442:                              ;   in Loop: Header=BB6_130 Depth=2
	v_and_b32_e32 v4, 0x7fff, v11
	v_and_b32_e32 v44, 0x7fff, v15
	v_cmp_lt_u16_e64 s[22:23], s35, v4
	v_cmp_gt_u16_e64 s[24:25], s36, v44
	s_and_b64 s[78:79], s[22:23], s[24:25]
	v_perm_b32 v31, v15, v11, s38
	s_mov_b64 s[26:27], -1
	s_and_b64 vcc, exec, s[20:21]
	s_xor_b64 s[78:79], s[78:79], -1
                                        ; implicit-def: $vgpr14
	s_cbranch_vccnz .LBB6_448
; %bb.443:                              ;   in Loop: Header=BB6_130 Depth=2
	v_mov_b32_e32 v14, v15
	s_and_saveexec_b64 s[88:89], s[78:79]
	s_cbranch_execz .LBB6_447
; %bb.444:                              ;   in Loop: Header=BB6_130 Depth=2
	s_or_b64 s[26:27], s[22:23], s[24:25]
	v_mov_b32_e32 v14, v11
	s_and_saveexec_b64 s[90:91], s[26:27]
; %bb.445:                              ;   in Loop: Header=BB6_130 Depth=2
	v_lshrrev_b32_e32 v4, 16, v31
	v_cmp_lt_u16_e32 vcc, s35, v44
	v_cmp_gt_f16_e64 s[26:27], v31, v4
	v_cndmask_b32_e64 v4, v4, v31, s[26:27]
	s_and_b64 vcc, s[22:23], vcc
	v_cndmask_b32_e32 v14, v4, v60, vcc
; %bb.446:                              ;   in Loop: Header=BB6_130 Depth=2
	s_or_b64 exec, exec, s[90:91]
.LBB6_447:                              ;   in Loop: Header=BB6_130 Depth=2
	s_or_b64 exec, exec, s[88:89]
	s_mov_b64 s[26:27], 0
.LBB6_448:                              ;   in Loop: Header=BB6_130 Depth=2
	s_andn2_b64 vcc, exec, s[26:27]
	s_cbranch_vccnz .LBB6_454
; %bb.449:                              ;   in Loop: Header=BB6_130 Depth=2
	v_mov_b32_e32 v14, v15
	s_and_saveexec_b64 s[26:27], s[78:79]
	s_cbranch_execz .LBB6_453
; %bb.450:                              ;   in Loop: Header=BB6_130 Depth=2
	s_or_b64 s[24:25], s[22:23], s[24:25]
	v_mov_b32_e32 v14, v11
	s_and_saveexec_b64 s[78:79], s[24:25]
; %bb.451:                              ;   in Loop: Header=BB6_130 Depth=2
	v_lshrrev_b32_e32 v4, 16, v31
	v_cmp_lt_u16_e32 vcc, s35, v44
	v_cmp_gt_f16_e64 s[24:25], v31, v4
	v_cndmask_b32_e64 v4, v31, v4, s[24:25]
	s_and_b64 vcc, s[22:23], vcc
	v_cndmask_b32_e32 v14, v4, v60, vcc
; %bb.452:                              ;   in Loop: Header=BB6_130 Depth=2
	s_or_b64 exec, exec, s[78:79]
.LBB6_453:                              ;   in Loop: Header=BB6_130 Depth=2
	s_or_b64 exec, exec, s[26:27]
.LBB6_454:                              ;   in Loop: Header=BB6_130 Depth=2
	v_lshrrev_b32_e32 v31, 16, v11
	v_lshrrev_b32_e32 v44, 16, v15
	v_and_b32_e32 v4, 0x7fff, v31
	v_and_b32_e32 v45, 0x7fff, v44
	v_cmp_lt_u16_e64 s[22:23], s35, v4
	v_cmp_gt_u16_e64 s[24:25], s36, v45
	s_and_b64 s[78:79], s[22:23], s[24:25]
	v_perm_b32 v15, v15, v11, s37
	s_mov_b64 s[26:27], -1
	s_and_b64 vcc, exec, s[20:21]
	s_xor_b64 s[78:79], s[78:79], -1
                                        ; implicit-def: $vgpr11
	s_cbranch_vccnz .LBB6_460
; %bb.455:                              ;   in Loop: Header=BB6_130 Depth=2
	v_mov_b32_e32 v11, v44
	s_and_saveexec_b64 s[88:89], s[78:79]
	s_cbranch_execz .LBB6_459
; %bb.456:                              ;   in Loop: Header=BB6_130 Depth=2
	s_or_b64 s[26:27], s[22:23], s[24:25]
	v_mov_b32_e32 v11, v31
	s_and_saveexec_b64 s[90:91], s[26:27]
; %bb.457:                              ;   in Loop: Header=BB6_130 Depth=2
	v_lshrrev_b32_e32 v4, 16, v15
	v_cmp_lt_u16_e32 vcc, s35, v45
	v_cmp_gt_f16_e64 s[26:27], v15, v4
	v_cndmask_b32_e64 v4, v4, v15, s[26:27]
	s_and_b64 vcc, s[22:23], vcc
	v_cndmask_b32_e32 v11, v4, v60, vcc
; %bb.458:                              ;   in Loop: Header=BB6_130 Depth=2
	s_or_b64 exec, exec, s[90:91]
.LBB6_459:                              ;   in Loop: Header=BB6_130 Depth=2
	s_or_b64 exec, exec, s[88:89]
	s_mov_b64 s[26:27], 0
.LBB6_460:                              ;   in Loop: Header=BB6_130 Depth=2
	s_andn2_b64 vcc, exec, s[26:27]
	s_cbranch_vccnz .LBB6_466
; %bb.461:                              ;   in Loop: Header=BB6_130 Depth=2
	s_and_saveexec_b64 s[26:27], s[78:79]
	s_cbranch_execz .LBB6_465
; %bb.462:                              ;   in Loop: Header=BB6_130 Depth=2
	s_or_b64 s[24:25], s[22:23], s[24:25]
	s_and_saveexec_b64 s[78:79], s[24:25]
; %bb.463:                              ;   in Loop: Header=BB6_130 Depth=2
	v_lshrrev_b32_e32 v4, 16, v15
	v_cmp_lt_u16_e32 vcc, s35, v45
	v_cmp_gt_f16_e64 s[24:25], v15, v4
	v_cndmask_b32_e64 v4, v15, v4, s[24:25]
	s_and_b64 vcc, s[22:23], vcc
	v_cndmask_b32_e32 v31, v4, v60, vcc
; %bb.464:                              ;   in Loop: Header=BB6_130 Depth=2
	s_or_b64 exec, exec, s[78:79]
	v_mov_b32_e32 v44, v31
.LBB6_465:                              ;   in Loop: Header=BB6_130 Depth=2
	s_or_b64 exec, exec, s[26:27]
	v_mov_b32_e32 v11, v44
.LBB6_466:                              ;   in Loop: Header=BB6_130 Depth=2
	v_and_b32_e32 v4, 0x7fff, v12
	v_and_b32_e32 v31, 0x7fff, v16
	v_cmp_lt_u16_e64 s[22:23], s35, v4
	v_cmp_gt_u16_e64 s[24:25], s36, v31
	s_and_b64 s[78:79], s[22:23], s[24:25]
	s_mov_b64 s[26:27], -1
	s_and_b64 vcc, exec, s[20:21]
	s_xor_b64 s[78:79], s[78:79], -1
                                        ; implicit-def: $vgpr15
	s_cbranch_vccnz .LBB6_472
; %bb.467:                              ;   in Loop: Header=BB6_130 Depth=2
	v_mov_b32_e32 v15, v16
	s_and_saveexec_b64 s[88:89], s[78:79]
	s_cbranch_execz .LBB6_471
; %bb.468:                              ;   in Loop: Header=BB6_130 Depth=2
	s_or_b64 s[26:27], s[22:23], s[24:25]
	v_mov_b32_e32 v15, v12
	s_and_saveexec_b64 s[90:91], s[26:27]
; %bb.469:                              ;   in Loop: Header=BB6_130 Depth=2
	v_cmp_lt_u16_e32 vcc, s35, v31
	v_cmp_gt_f16_e64 s[26:27], v12, v16
	v_cndmask_b32_e64 v4, v16, v12, s[26:27]
	s_and_b64 vcc, s[22:23], vcc
	v_cndmask_b32_e32 v15, v4, v60, vcc
; %bb.470:                              ;   in Loop: Header=BB6_130 Depth=2
	s_or_b64 exec, exec, s[90:91]
.LBB6_471:                              ;   in Loop: Header=BB6_130 Depth=2
	s_or_b64 exec, exec, s[88:89]
	s_mov_b64 s[26:27], 0
.LBB6_472:                              ;   in Loop: Header=BB6_130 Depth=2
	s_andn2_b64 vcc, exec, s[26:27]
	s_cbranch_vccnz .LBB6_478
; %bb.473:                              ;   in Loop: Header=BB6_130 Depth=2
	v_mov_b32_e32 v15, v16
	s_and_saveexec_b64 s[26:27], s[78:79]
	s_cbranch_execz .LBB6_477
; %bb.474:                              ;   in Loop: Header=BB6_130 Depth=2
	s_or_b64 s[24:25], s[22:23], s[24:25]
	v_mov_b32_e32 v15, v12
	s_and_saveexec_b64 s[78:79], s[24:25]
; %bb.475:                              ;   in Loop: Header=BB6_130 Depth=2
	v_cmp_lt_u16_e32 vcc, s35, v31
	v_cmp_gt_f16_e64 s[24:25], v12, v16
	v_cndmask_b32_e64 v4, v12, v16, s[24:25]
	s_and_b64 vcc, s[22:23], vcc
	v_cndmask_b32_e32 v15, v4, v60, vcc
; %bb.476:                              ;   in Loop: Header=BB6_130 Depth=2
	s_or_b64 exec, exec, s[78:79]
.LBB6_477:                              ;   in Loop: Header=BB6_130 Depth=2
	s_or_b64 exec, exec, s[26:27]
.LBB6_478:                              ;   in Loop: Header=BB6_130 Depth=2
	v_perm_b32 v31, v16, v12, s37
	v_lshrrev_b32_e32 v44, 16, v16
	v_lshrrev_b32_e32 v16, 16, v12
	v_and_b32_e32 v4, 0x7fff, v16
	v_and_b32_e32 v45, 0x7fff, v44
	v_cmp_lt_u16_e64 s[22:23], s35, v4
	v_cmp_gt_u16_e64 s[24:25], s36, v45
	s_and_b64 s[78:79], s[22:23], s[24:25]
	s_mov_b64 s[26:27], -1
	s_and_b64 vcc, exec, s[20:21]
	s_xor_b64 s[78:79], s[78:79], -1
                                        ; implicit-def: $vgpr12
	s_cbranch_vccnz .LBB6_484
; %bb.479:                              ;   in Loop: Header=BB6_130 Depth=2
	v_mov_b32_e32 v12, v44
	s_and_saveexec_b64 s[88:89], s[78:79]
	s_cbranch_execz .LBB6_483
; %bb.480:                              ;   in Loop: Header=BB6_130 Depth=2
	s_or_b64 s[26:27], s[22:23], s[24:25]
	v_mov_b32_e32 v12, v16
	s_and_saveexec_b64 s[90:91], s[26:27]
; %bb.481:                              ;   in Loop: Header=BB6_130 Depth=2
	v_lshrrev_b32_e32 v4, 16, v31
	v_cmp_lt_u16_e32 vcc, s35, v45
	v_cmp_gt_f16_e64 s[26:27], v31, v4
	v_cndmask_b32_e64 v4, v4, v31, s[26:27]
	s_and_b64 vcc, s[22:23], vcc
	v_cndmask_b32_e32 v12, v4, v60, vcc
; %bb.482:                              ;   in Loop: Header=BB6_130 Depth=2
	s_or_b64 exec, exec, s[90:91]
.LBB6_483:                              ;   in Loop: Header=BB6_130 Depth=2
	s_or_b64 exec, exec, s[88:89]
	s_mov_b64 s[26:27], 0
.LBB6_484:                              ;   in Loop: Header=BB6_130 Depth=2
	s_andn2_b64 vcc, exec, s[26:27]
	s_cbranch_vccnz .LBB6_490
; %bb.485:                              ;   in Loop: Header=BB6_130 Depth=2
	s_and_saveexec_b64 s[26:27], s[78:79]
	s_cbranch_execz .LBB6_489
; %bb.486:                              ;   in Loop: Header=BB6_130 Depth=2
	s_or_b64 s[24:25], s[22:23], s[24:25]
	s_and_saveexec_b64 s[78:79], s[24:25]
; %bb.487:                              ;   in Loop: Header=BB6_130 Depth=2
	v_lshrrev_b32_e32 v4, 16, v31
	v_cmp_lt_u16_e32 vcc, s35, v45
	v_cmp_gt_f16_e64 s[24:25], v31, v4
	v_cndmask_b32_e64 v4, v31, v4, s[24:25]
	s_and_b64 vcc, s[22:23], vcc
	v_cndmask_b32_e32 v16, v4, v60, vcc
; %bb.488:                              ;   in Loop: Header=BB6_130 Depth=2
	s_or_b64 exec, exec, s[78:79]
	v_mov_b32_e32 v44, v16
.LBB6_489:                              ;   in Loop: Header=BB6_130 Depth=2
	s_or_b64 exec, exec, s[26:27]
	v_mov_b32_e32 v12, v44
.LBB6_490:                              ;   in Loop: Header=BB6_130 Depth=2
	v_and_b32_e32 v4, 0x7fff, v13
	v_and_b32_e32 v44, 0x7fff, v17
	v_cmp_lt_u16_e64 s[22:23], s35, v4
	v_cmp_gt_u16_e64 s[24:25], s36, v44
	s_and_b64 s[78:79], s[22:23], s[24:25]
	v_perm_b32 v31, v17, v13, s38
	s_mov_b64 s[26:27], -1
	s_and_b64 vcc, exec, s[20:21]
	s_xor_b64 s[78:79], s[78:79], -1
                                        ; implicit-def: $vgpr16
	s_cbranch_vccnz .LBB6_496
; %bb.491:                              ;   in Loop: Header=BB6_130 Depth=2
	v_mov_b32_e32 v16, v17
	s_and_saveexec_b64 s[88:89], s[78:79]
	s_cbranch_execz .LBB6_495
; %bb.492:                              ;   in Loop: Header=BB6_130 Depth=2
	s_or_b64 s[26:27], s[22:23], s[24:25]
	v_mov_b32_e32 v16, v13
	s_and_saveexec_b64 s[90:91], s[26:27]
; %bb.493:                              ;   in Loop: Header=BB6_130 Depth=2
	v_lshrrev_b32_e32 v4, 16, v31
	v_cmp_lt_u16_e32 vcc, s35, v44
	v_cmp_gt_f16_e64 s[26:27], v31, v4
	v_cndmask_b32_e64 v4, v4, v31, s[26:27]
	s_and_b64 vcc, s[22:23], vcc
	v_cndmask_b32_e32 v16, v4, v60, vcc
; %bb.494:                              ;   in Loop: Header=BB6_130 Depth=2
	s_or_b64 exec, exec, s[90:91]
.LBB6_495:                              ;   in Loop: Header=BB6_130 Depth=2
	s_or_b64 exec, exec, s[88:89]
	s_mov_b64 s[26:27], 0
.LBB6_496:                              ;   in Loop: Header=BB6_130 Depth=2
	s_andn2_b64 vcc, exec, s[26:27]
	s_cbranch_vccnz .LBB6_502
; %bb.497:                              ;   in Loop: Header=BB6_130 Depth=2
	v_mov_b32_e32 v16, v17
	s_and_saveexec_b64 s[26:27], s[78:79]
	s_cbranch_execz .LBB6_501
; %bb.498:                              ;   in Loop: Header=BB6_130 Depth=2
	s_or_b64 s[24:25], s[22:23], s[24:25]
	v_mov_b32_e32 v16, v13
	s_and_saveexec_b64 s[78:79], s[24:25]
; %bb.499:                              ;   in Loop: Header=BB6_130 Depth=2
	v_lshrrev_b32_e32 v4, 16, v31
	v_cmp_lt_u16_e32 vcc, s35, v44
	v_cmp_gt_f16_e64 s[24:25], v31, v4
	v_cndmask_b32_e64 v4, v31, v4, s[24:25]
	s_and_b64 vcc, s[22:23], vcc
	v_cndmask_b32_e32 v16, v4, v60, vcc
; %bb.500:                              ;   in Loop: Header=BB6_130 Depth=2
	s_or_b64 exec, exec, s[78:79]
.LBB6_501:                              ;   in Loop: Header=BB6_130 Depth=2
	s_or_b64 exec, exec, s[26:27]
.LBB6_502:                              ;   in Loop: Header=BB6_130 Depth=2
	v_lshrrev_b32_e32 v31, 16, v13
	v_lshrrev_b32_e32 v44, 16, v17
	v_and_b32_e32 v4, 0x7fff, v31
	v_and_b32_e32 v45, 0x7fff, v44
	v_cmp_lt_u16_e64 s[22:23], s35, v4
	v_cmp_gt_u16_e64 s[24:25], s36, v45
	s_and_b64 s[26:27], s[22:23], s[24:25]
	v_perm_b32 v17, v17, v13, s37
	s_mov_b64 s[78:79], -1
	s_and_b64 vcc, exec, s[20:21]
	s_xor_b64 s[26:27], s[26:27], -1
                                        ; implicit-def: $vgpr13
	s_cbranch_vccnz .LBB6_508
; %bb.503:                              ;   in Loop: Header=BB6_130 Depth=2
	v_mov_b32_e32 v13, v44
	s_and_saveexec_b64 s[78:79], s[26:27]
	s_cbranch_execz .LBB6_507
; %bb.504:                              ;   in Loop: Header=BB6_130 Depth=2
	s_or_b64 s[20:21], s[22:23], s[24:25]
	v_mov_b32_e32 v13, v31
	s_and_saveexec_b64 s[88:89], s[20:21]
; %bb.505:                              ;   in Loop: Header=BB6_130 Depth=2
	v_lshrrev_b32_e32 v4, 16, v17
	v_cmp_lt_u16_e32 vcc, s35, v45
	v_cmp_gt_f16_e64 s[20:21], v17, v4
	v_cndmask_b32_e64 v4, v4, v17, s[20:21]
	s_and_b64 vcc, s[22:23], vcc
	v_cndmask_b32_e32 v13, v4, v60, vcc
; %bb.506:                              ;   in Loop: Header=BB6_130 Depth=2
	s_or_b64 exec, exec, s[88:89]
.LBB6_507:                              ;   in Loop: Header=BB6_130 Depth=2
	s_or_b64 exec, exec, s[78:79]
	s_mov_b64 s[78:79], 0
.LBB6_508:                              ;   in Loop: Header=BB6_130 Depth=2
	s_andn2_b64 vcc, exec, s[78:79]
	s_cbranch_vccnz .LBB6_129
; %bb.509:                              ;   in Loop: Header=BB6_130 Depth=2
	s_and_saveexec_b64 s[78:79], s[26:27]
	s_cbranch_execz .LBB6_128
; %bb.510:                              ;   in Loop: Header=BB6_130 Depth=2
	s_or_b64 s[20:21], s[22:23], s[24:25]
	s_and_saveexec_b64 s[24:25], s[20:21]
	s_cbranch_execz .LBB6_127
; %bb.511:                              ;   in Loop: Header=BB6_130 Depth=2
	v_lshrrev_b32_e32 v4, 16, v17
	v_cmp_lt_u16_e32 vcc, s35, v45
	v_cmp_gt_f16_e64 s[20:21], v17, v4
	v_cndmask_b32_e64 v4, v17, v4, s[20:21]
	s_and_b64 vcc, s[22:23], vcc
	v_cndmask_b32_e32 v31, v4, v60, vcc
	s_branch .LBB6_127
.LBB6_512:                              ;   in Loop: Header=BB6_49 Depth=1
	s_or_b64 exec, exec, s[74:75]
	buffer_load_dword v43, off, s[0:3], s33 offset:140 ; 4-byte Folded Reload
	buffer_load_dword v36, off, s[0:3], s33 offset:112 ; 4-byte Folded Reload
	;; [unrolled: 1-line block ×25, first 2 shown]
	v_mov_b32_e32 v20, 1
	s_waitcnt vmcnt(21)
	v_mov_b32_e32 v38, 0xc8
	s_waitcnt vmcnt(20)
	v_mov_b32_e32 v39, 0x90
.LBB6_513:                              ;   in Loop: Header=BB6_49 Depth=1
	s_or_b64 exec, exec, s[72:73]
	s_waitcnt vmcnt(0)
	v_lshlrev_b32_e32 v22, 12, v1
	v_cmp_ne_u32_e32 vcc, v56, v22
	s_mov_b64 s[20:21], 0
	v_mov_b32_e32 v6, 0
                                        ; implicit-def: $vgpr4
	s_and_saveexec_b64 s[72:73], vcc
	s_cbranch_execz .LBB6_583
; %bb.514:                              ;   in Loop: Header=BB6_49 Depth=1
	buffer_load_dword v4, off, s[0:3], s33 offset:220 ; 4-byte Folded Reload
	v_lshlrev_b32_e32 v0, 6, v42
	v_sub_u32_e32 v1, v56, v22
	s_waitcnt vmcnt(0)
	v_sub_u32_e32 v0, v4, v0
	v_ashrrev_i32_e32 v4, 31, v0
	v_lshrrev_b32_e32 v4, 26, v4
	v_add_u32_e32 v4, v0, v4
	v_ashrrev_i32_e32 v5, 6, v4
	v_and_b32_e32 v4, 0xffffffc0, v4
	v_sub_u32_e32 v23, v0, v4
	v_ashrrev_i32_e32 v4, 31, v1
	v_lshrrev_b32_e32 v4, 22, v4
	v_add_u32_e32 v4, v1, v4
	v_and_b32_e32 v24, 0xfffffc00, v4
	v_lshlrev_b32_e32 v0, 4, v23
	v_sub_u32_e32 v25, v1, v24
	v_lshl_add_u32 v0, v5, 10, v0
	v_ashrrev_i32_e32 v6, 10, v4
	v_cmp_lt_i32_e64 s[20:21], 15, v25
	v_sub_u32_e32 v27, v1, v0
	v_addc_co_u32_e64 v1, vcc, 0, v6, s[20:21]
	v_sub_u32_e32 v26, v1, v5
	v_cmp_lt_i32_e32 vcc, 15, v27
	s_and_saveexec_b64 s[74:75], vcc
	s_cbranch_execz .LBB6_582
; %bb.515:                              ;   in Loop: Header=BB6_49 Depth=1
	s_trap 2
	buffer_load_dword v9, off, s[0:3], s33 offset:228 ; 4-byte Folded Reload
	ds_read_b64 v[4:5], v0
	v_add_u32_e32 v6, v0, v22
	v_ashrrev_i32_e32 v7, 31, v6
	v_add_co_u32_e32 v0, vcc, v6, v31
	v_addc_co_u32_e32 v1, vcc, v7, v32, vcc
	s_waitcnt lgkmcnt(0)
	v_add_co_u32_e32 v18, vcc, v4, v6
	v_addc_co_u32_e32 v19, vcc, v5, v7, vcc
	v_add_co_u32_e32 v20, vcc, v6, v12
	v_mov_b32_e32 v59, v13
	s_bitcmp1_b32 s94, 0
	v_mov_b32_e32 v42, v56
	v_mov_b32_e32 v58, v12
	v_addc_co_u32_e32 v21, vcc, v7, v13, vcc
	s_mov_b64 s[76:77], 0
	s_cselect_b64 s[78:79], -1, 0
	s_branch .LBB6_518
.LBB6_516:                              ;   in Loop: Header=BB6_518 Depth=2
	s_or_b64 exec, exec, s[90:91]
	v_mov_b32_e32 v17, v13
.LBB6_517:                              ;   in Loop: Header=BB6_518 Depth=2
	v_lshlrev_b32_e32 v6, 16, v10
	v_and_b32_e32 v7, 0xffff, v28
	v_lshlrev_b32_e32 v4, 16, v11
	v_and_b32_e32 v5, 0xffff, v14
	v_or_b32_e32 v6, v6, v7
	v_add_co_u32_e32 v0, vcc, v0, v9
	v_or3_b32 v5, v4, v5, 0
	v_or3_b32 v4, 0, 0, v6
	v_lshlrev_b32_e32 v6, 16, v12
	v_and_b32_e32 v7, 0xffff, v15
	v_addc_co_u32_e32 v1, vcc, 0, v1, vcc
	v_or_b32_e32 v6, v6, v7
	v_lshlrev_b32_e32 v7, 16, v17
	v_and_b32_e32 v8, 0xffff, v16
	v_add_co_u32_e32 v18, vcc, v18, v9
	v_or3_b32 v7, v7, v8, 0
	v_or3_b32 v6, 0, 0, v6
	v_addc_co_u32_e32 v19, vcc, 0, v19, vcc
	global_store_dwordx4 v[20:21], v[4:7], off glc slc
	v_add_co_u32_e32 v20, vcc, v20, v9
	v_addc_co_u32_e32 v21, vcc, 0, v21, vcc
	v_sub_u32_e32 v27, v27, v9
	v_cmp_gt_i32_e32 vcc, 16, v27
	s_or_b64 s[76:77], vcc, s[76:77]
	v_sub_u32_e32 v26, v26, v44
	s_andn2_b64 exec, exec, s[76:77]
	s_cbranch_execz .LBB6_581
.LBB6_518:                              ;   Parent Loop BB6_49 Depth=1
                                        ; =>  This Inner Loop Header: Depth=2
	global_load_dwordx4 v[10:13], v[0:1], off glc slc
	global_load_dwordx4 v[14:17], v[18:19], off glc slc
	s_mov_b64 s[90:91], -1
	s_and_b64 vcc, exec, s[78:79]
                                        ; implicit-def: $vgpr28
	s_waitcnt vmcnt(0)
	v_and_b32_e32 v4, 0x7fff, v14
	v_cmp_gt_u16_e64 s[22:23], s36, v4
	v_cmp_lt_u16_e64 s[24:25], s35, v4
	v_and_b32_e32 v4, 0x7fff, v10
	v_cmp_lt_u16_e64 s[26:27], s35, v4
	s_and_b64 s[88:89], s[26:27], s[22:23]
	s_xor_b64 s[88:89], s[88:89], -1
	s_cbranch_vccz .LBB6_522
; %bb.519:                              ;   in Loop: Header=BB6_518 Depth=2
	v_mov_b32_e32 v28, v14
	s_and_saveexec_b64 s[90:91], s[88:89]
; %bb.520:                              ;   in Loop: Header=BB6_518 Depth=2
	v_cmp_gt_f16_e32 vcc, v10, v14
	v_cndmask_b32_e32 v4, v14, v10, vcc
	s_and_b64 vcc, s[26:27], s[24:25]
	v_cndmask_b32_e32 v4, v4, v60, vcc
	s_or_b64 vcc, s[26:27], s[22:23]
	v_cndmask_b32_e32 v28, v10, v4, vcc
; %bb.521:                              ;   in Loop: Header=BB6_518 Depth=2
	s_or_b64 exec, exec, s[90:91]
	s_mov_b64 s[90:91], 0
.LBB6_522:                              ;   in Loop: Header=BB6_518 Depth=2
	s_andn2_b64 vcc, exec, s[90:91]
	s_cbranch_vccnz .LBB6_526
; %bb.523:                              ;   in Loop: Header=BB6_518 Depth=2
	v_mov_b32_e32 v28, v14
	s_and_saveexec_b64 s[90:91], s[88:89]
; %bb.524:                              ;   in Loop: Header=BB6_518 Depth=2
	v_cmp_gt_f16_e32 vcc, v10, v14
	v_cndmask_b32_e32 v4, v10, v14, vcc
	s_and_b64 vcc, s[26:27], s[24:25]
	v_cndmask_b32_e32 v4, v4, v60, vcc
	s_or_b64 vcc, s[26:27], s[22:23]
	v_cndmask_b32_e32 v28, v10, v4, vcc
; %bb.525:                              ;   in Loop: Header=BB6_518 Depth=2
	s_or_b64 exec, exec, s[90:91]
.LBB6_526:                              ;   in Loop: Header=BB6_518 Depth=2
	v_lshrrev_b32_e32 v14, 16, v14
	v_and_b32_e32 v4, 0x7fff, v14
	v_lshrrev_b32_e32 v29, 16, v10
	v_cmp_gt_u16_e64 s[22:23], s36, v4
	v_cmp_lt_u16_e64 s[24:25], s35, v4
	v_and_b32_e32 v4, 0x7fff, v29
	v_cmp_lt_u16_e64 s[26:27], s35, v4
	s_and_b64 s[88:89], s[26:27], s[22:23]
	s_mov_b64 s[90:91], -1
	s_xor_b64 s[88:89], s[88:89], -1
	s_and_b64 vcc, exec, s[78:79]
                                        ; implicit-def: $vgpr10
	s_cbranch_vccz .LBB6_530
; %bb.527:                              ;   in Loop: Header=BB6_518 Depth=2
	v_mov_b32_e32 v10, v14
	s_and_saveexec_b64 s[90:91], s[88:89]
; %bb.528:                              ;   in Loop: Header=BB6_518 Depth=2
	v_cmp_gt_f16_e32 vcc, v29, v14
	v_cndmask_b32_e32 v4, v14, v29, vcc
	s_and_b64 vcc, s[26:27], s[24:25]
	v_cndmask_b32_e32 v4, v4, v60, vcc
	s_or_b64 vcc, s[26:27], s[22:23]
	v_cndmask_b32_e32 v10, v29, v4, vcc
; %bb.529:                              ;   in Loop: Header=BB6_518 Depth=2
	s_or_b64 exec, exec, s[90:91]
	s_mov_b64 s[90:91], 0
.LBB6_530:                              ;   in Loop: Header=BB6_518 Depth=2
	s_andn2_b64 vcc, exec, s[90:91]
	s_cbranch_vccnz .LBB6_534
; %bb.531:                              ;   in Loop: Header=BB6_518 Depth=2
	s_and_saveexec_b64 s[90:91], s[88:89]
; %bb.532:                              ;   in Loop: Header=BB6_518 Depth=2
	v_cmp_gt_f16_e32 vcc, v29, v14
	v_cndmask_b32_e32 v4, v29, v14, vcc
	s_and_b64 vcc, s[26:27], s[24:25]
	v_cndmask_b32_e32 v4, v4, v60, vcc
	s_or_b64 vcc, s[26:27], s[22:23]
	v_cndmask_b32_e32 v14, v29, v4, vcc
; %bb.533:                              ;   in Loop: Header=BB6_518 Depth=2
	s_or_b64 exec, exec, s[90:91]
	v_mov_b32_e32 v10, v14
.LBB6_534:                              ;   in Loop: Header=BB6_518 Depth=2
	v_and_b32_e32 v4, 0x7fff, v15
	v_cmp_gt_u16_e64 s[22:23], s36, v4
	v_cmp_lt_u16_e64 s[24:25], s35, v4
	v_and_b32_e32 v4, 0x7fff, v11
	v_cmp_lt_u16_e64 s[26:27], s35, v4
	s_and_b64 s[88:89], s[26:27], s[22:23]
	s_mov_b64 s[90:91], -1
	s_xor_b64 s[88:89], s[88:89], -1
	s_and_b64 vcc, exec, s[78:79]
                                        ; implicit-def: $vgpr14
	s_cbranch_vccz .LBB6_538
; %bb.535:                              ;   in Loop: Header=BB6_518 Depth=2
	v_mov_b32_e32 v14, v15
	s_and_saveexec_b64 s[90:91], s[88:89]
; %bb.536:                              ;   in Loop: Header=BB6_518 Depth=2
	v_cmp_gt_f16_e32 vcc, v11, v15
	v_cndmask_b32_e32 v4, v15, v11, vcc
	s_and_b64 vcc, s[26:27], s[24:25]
	v_cndmask_b32_e32 v4, v4, v60, vcc
	s_or_b64 vcc, s[26:27], s[22:23]
	v_cndmask_b32_e32 v14, v11, v4, vcc
; %bb.537:                              ;   in Loop: Header=BB6_518 Depth=2
	s_or_b64 exec, exec, s[90:91]
	s_mov_b64 s[90:91], 0
.LBB6_538:                              ;   in Loop: Header=BB6_518 Depth=2
	s_andn2_b64 vcc, exec, s[90:91]
	s_cbranch_vccnz .LBB6_542
; %bb.539:                              ;   in Loop: Header=BB6_518 Depth=2
	v_mov_b32_e32 v14, v15
	s_and_saveexec_b64 s[90:91], s[88:89]
; %bb.540:                              ;   in Loop: Header=BB6_518 Depth=2
	v_cmp_gt_f16_e32 vcc, v11, v15
	v_cndmask_b32_e32 v4, v11, v15, vcc
	s_and_b64 vcc, s[26:27], s[24:25]
	v_cndmask_b32_e32 v4, v4, v60, vcc
	s_or_b64 vcc, s[26:27], s[22:23]
	v_cndmask_b32_e32 v14, v11, v4, vcc
; %bb.541:                              ;   in Loop: Header=BB6_518 Depth=2
	s_or_b64 exec, exec, s[90:91]
.LBB6_542:                              ;   in Loop: Header=BB6_518 Depth=2
	v_lshrrev_b32_e32 v15, 16, v15
	v_lshrrev_b32_e32 v29, 16, v11
	v_and_b32_e32 v4, 0x7fff, v15
	v_cmp_gt_u16_e64 s[22:23], s36, v4
	v_cmp_lt_u16_e64 s[24:25], s35, v4
	v_and_b32_e32 v4, 0x7fff, v29
	v_cmp_lt_u16_e64 s[26:27], s35, v4
	s_and_b64 s[88:89], s[26:27], s[22:23]
	s_mov_b64 s[90:91], -1
	s_xor_b64 s[88:89], s[88:89], -1
	s_and_b64 vcc, exec, s[78:79]
                                        ; implicit-def: $vgpr11
	s_cbranch_vccz .LBB6_546
; %bb.543:                              ;   in Loop: Header=BB6_518 Depth=2
	v_mov_b32_e32 v11, v15
	s_and_saveexec_b64 s[90:91], s[88:89]
; %bb.544:                              ;   in Loop: Header=BB6_518 Depth=2
	v_cmp_gt_f16_e32 vcc, v29, v15
	v_cndmask_b32_e32 v4, v15, v29, vcc
	s_and_b64 vcc, s[26:27], s[24:25]
	v_cndmask_b32_e32 v4, v4, v60, vcc
	s_or_b64 vcc, s[26:27], s[22:23]
	v_cndmask_b32_e32 v11, v29, v4, vcc
; %bb.545:                              ;   in Loop: Header=BB6_518 Depth=2
	s_or_b64 exec, exec, s[90:91]
	s_mov_b64 s[90:91], 0
.LBB6_546:                              ;   in Loop: Header=BB6_518 Depth=2
	s_andn2_b64 vcc, exec, s[90:91]
	s_cbranch_vccnz .LBB6_550
; %bb.547:                              ;   in Loop: Header=BB6_518 Depth=2
	s_and_saveexec_b64 s[90:91], s[88:89]
; %bb.548:                              ;   in Loop: Header=BB6_518 Depth=2
	v_cmp_gt_f16_e32 vcc, v29, v15
	v_cndmask_b32_e32 v4, v29, v15, vcc
	s_and_b64 vcc, s[26:27], s[24:25]
	v_cndmask_b32_e32 v4, v4, v60, vcc
	s_or_b64 vcc, s[26:27], s[22:23]
	v_cndmask_b32_e32 v15, v29, v4, vcc
; %bb.549:                              ;   in Loop: Header=BB6_518 Depth=2
	s_or_b64 exec, exec, s[90:91]
	v_mov_b32_e32 v11, v15
.LBB6_550:                              ;   in Loop: Header=BB6_518 Depth=2
	v_and_b32_e32 v4, 0x7fff, v16
	v_cmp_gt_u16_e64 s[22:23], s36, v4
	v_cmp_lt_u16_e64 s[24:25], s35, v4
	v_and_b32_e32 v4, 0x7fff, v12
	v_cmp_lt_u16_e64 s[26:27], s35, v4
	s_and_b64 s[88:89], s[26:27], s[22:23]
	s_mov_b64 s[90:91], -1
	s_xor_b64 s[88:89], s[88:89], -1
	s_and_b64 vcc, exec, s[78:79]
                                        ; implicit-def: $vgpr15
	s_cbranch_vccz .LBB6_554
; %bb.551:                              ;   in Loop: Header=BB6_518 Depth=2
	v_mov_b32_e32 v15, v16
	s_and_saveexec_b64 s[90:91], s[88:89]
; %bb.552:                              ;   in Loop: Header=BB6_518 Depth=2
	v_cmp_gt_f16_e32 vcc, v12, v16
	v_cndmask_b32_e32 v4, v16, v12, vcc
	s_and_b64 vcc, s[26:27], s[24:25]
	v_cndmask_b32_e32 v4, v4, v60, vcc
	s_or_b64 vcc, s[26:27], s[22:23]
	v_cndmask_b32_e32 v15, v12, v4, vcc
; %bb.553:                              ;   in Loop: Header=BB6_518 Depth=2
	s_or_b64 exec, exec, s[90:91]
	s_mov_b64 s[90:91], 0
.LBB6_554:                              ;   in Loop: Header=BB6_518 Depth=2
	s_andn2_b64 vcc, exec, s[90:91]
	s_cbranch_vccnz .LBB6_558
; %bb.555:                              ;   in Loop: Header=BB6_518 Depth=2
	v_mov_b32_e32 v15, v16
	s_and_saveexec_b64 s[90:91], s[88:89]
; %bb.556:                              ;   in Loop: Header=BB6_518 Depth=2
	v_cmp_gt_f16_e32 vcc, v12, v16
	v_cndmask_b32_e32 v4, v12, v16, vcc
	s_and_b64 vcc, s[26:27], s[24:25]
	v_cndmask_b32_e32 v4, v4, v60, vcc
	s_or_b64 vcc, s[26:27], s[22:23]
	v_cndmask_b32_e32 v15, v12, v4, vcc
; %bb.557:                              ;   in Loop: Header=BB6_518 Depth=2
	s_or_b64 exec, exec, s[90:91]
.LBB6_558:                              ;   in Loop: Header=BB6_518 Depth=2
	v_lshrrev_b32_e32 v16, 16, v16
	v_lshrrev_b32_e32 v29, 16, v12
	v_and_b32_e32 v4, 0x7fff, v16
	v_cmp_gt_u16_e64 s[22:23], s36, v4
	v_cmp_lt_u16_e64 s[24:25], s35, v4
	v_and_b32_e32 v4, 0x7fff, v29
	v_cmp_lt_u16_e64 s[26:27], s35, v4
	s_and_b64 s[88:89], s[26:27], s[22:23]
	s_mov_b64 s[90:91], -1
	s_xor_b64 s[88:89], s[88:89], -1
	s_and_b64 vcc, exec, s[78:79]
                                        ; implicit-def: $vgpr12
	s_cbranch_vccz .LBB6_562
; %bb.559:                              ;   in Loop: Header=BB6_518 Depth=2
	v_mov_b32_e32 v12, v16
	s_and_saveexec_b64 s[90:91], s[88:89]
; %bb.560:                              ;   in Loop: Header=BB6_518 Depth=2
	v_cmp_gt_f16_e32 vcc, v29, v16
	v_cndmask_b32_e32 v4, v16, v29, vcc
	s_and_b64 vcc, s[26:27], s[24:25]
	v_cndmask_b32_e32 v4, v4, v60, vcc
	s_or_b64 vcc, s[26:27], s[22:23]
	v_cndmask_b32_e32 v12, v29, v4, vcc
; %bb.561:                              ;   in Loop: Header=BB6_518 Depth=2
	s_or_b64 exec, exec, s[90:91]
	s_mov_b64 s[90:91], 0
.LBB6_562:                              ;   in Loop: Header=BB6_518 Depth=2
	s_andn2_b64 vcc, exec, s[90:91]
	s_cbranch_vccnz .LBB6_566
; %bb.563:                              ;   in Loop: Header=BB6_518 Depth=2
	s_and_saveexec_b64 s[90:91], s[88:89]
; %bb.564:                              ;   in Loop: Header=BB6_518 Depth=2
	v_cmp_gt_f16_e32 vcc, v29, v16
	v_cndmask_b32_e32 v4, v29, v16, vcc
	s_and_b64 vcc, s[26:27], s[24:25]
	v_cndmask_b32_e32 v4, v4, v60, vcc
	s_or_b64 vcc, s[26:27], s[22:23]
	v_cndmask_b32_e32 v16, v29, v4, vcc
; %bb.565:                              ;   in Loop: Header=BB6_518 Depth=2
	s_or_b64 exec, exec, s[90:91]
	v_mov_b32_e32 v12, v16
.LBB6_566:                              ;   in Loop: Header=BB6_518 Depth=2
	v_and_b32_e32 v4, 0x7fff, v17
	v_cmp_gt_u16_e64 s[22:23], s36, v4
	v_cmp_lt_u16_e64 s[24:25], s35, v4
	v_and_b32_e32 v4, 0x7fff, v13
	v_cmp_lt_u16_e64 s[26:27], s35, v4
	s_and_b64 s[88:89], s[26:27], s[22:23]
	s_mov_b64 s[90:91], -1
	s_xor_b64 s[88:89], s[88:89], -1
	s_and_b64 vcc, exec, s[78:79]
                                        ; implicit-def: $vgpr16
	s_cbranch_vccz .LBB6_570
; %bb.567:                              ;   in Loop: Header=BB6_518 Depth=2
	v_mov_b32_e32 v16, v17
	s_and_saveexec_b64 s[90:91], s[88:89]
; %bb.568:                              ;   in Loop: Header=BB6_518 Depth=2
	v_cmp_gt_f16_e32 vcc, v13, v17
	v_cndmask_b32_e32 v4, v17, v13, vcc
	s_and_b64 vcc, s[26:27], s[24:25]
	v_cndmask_b32_e32 v4, v4, v60, vcc
	s_or_b64 vcc, s[26:27], s[22:23]
	v_cndmask_b32_e32 v16, v13, v4, vcc
; %bb.569:                              ;   in Loop: Header=BB6_518 Depth=2
	s_or_b64 exec, exec, s[90:91]
	s_mov_b64 s[90:91], 0
.LBB6_570:                              ;   in Loop: Header=BB6_518 Depth=2
	s_andn2_b64 vcc, exec, s[90:91]
	s_cbranch_vccnz .LBB6_574
; %bb.571:                              ;   in Loop: Header=BB6_518 Depth=2
	v_mov_b32_e32 v16, v17
	s_and_saveexec_b64 s[90:91], s[88:89]
; %bb.572:                              ;   in Loop: Header=BB6_518 Depth=2
	v_cmp_gt_f16_e32 vcc, v13, v17
	v_cndmask_b32_e32 v4, v13, v17, vcc
	s_and_b64 vcc, s[26:27], s[24:25]
	v_cndmask_b32_e32 v4, v4, v60, vcc
	s_or_b64 vcc, s[26:27], s[22:23]
	v_cndmask_b32_e32 v16, v13, v4, vcc
; %bb.573:                              ;   in Loop: Header=BB6_518 Depth=2
	s_or_b64 exec, exec, s[90:91]
.LBB6_574:                              ;   in Loop: Header=BB6_518 Depth=2
	v_lshrrev_b32_e32 v29, 16, v13
	v_lshrrev_b32_e32 v13, 16, v17
	v_and_b32_e32 v4, 0x7fff, v13
	v_cmp_gt_u16_e64 s[22:23], s36, v4
	v_cmp_lt_u16_e64 s[24:25], s35, v4
	v_and_b32_e32 v4, 0x7fff, v29
	v_cmp_lt_u16_e64 s[26:27], s35, v4
	s_and_b64 s[88:89], s[26:27], s[22:23]
	s_mov_b64 s[90:91], -1
	s_xor_b64 s[88:89], s[88:89], -1
	s_and_b64 vcc, exec, s[78:79]
                                        ; implicit-def: $vgpr17
	s_cbranch_vccz .LBB6_578
; %bb.575:                              ;   in Loop: Header=BB6_518 Depth=2
	v_mov_b32_e32 v17, v13
	s_and_saveexec_b64 s[90:91], s[88:89]
; %bb.576:                              ;   in Loop: Header=BB6_518 Depth=2
	v_cmp_gt_f16_e32 vcc, v29, v13
	v_cndmask_b32_e32 v4, v13, v29, vcc
	s_and_b64 vcc, s[26:27], s[24:25]
	v_cndmask_b32_e32 v4, v4, v60, vcc
	s_or_b64 vcc, s[26:27], s[22:23]
	v_cndmask_b32_e32 v17, v29, v4, vcc
; %bb.577:                              ;   in Loop: Header=BB6_518 Depth=2
	s_or_b64 exec, exec, s[90:91]
	s_mov_b64 s[90:91], 0
.LBB6_578:                              ;   in Loop: Header=BB6_518 Depth=2
	s_andn2_b64 vcc, exec, s[90:91]
	s_cbranch_vccnz .LBB6_517
; %bb.579:                              ;   in Loop: Header=BB6_518 Depth=2
	s_and_saveexec_b64 s[90:91], s[88:89]
	s_cbranch_execz .LBB6_516
; %bb.580:                              ;   in Loop: Header=BB6_518 Depth=2
	v_cmp_gt_f16_e32 vcc, v29, v13
	v_cndmask_b32_e32 v4, v29, v13, vcc
	s_and_b64 vcc, s[26:27], s[24:25]
	v_cndmask_b32_e32 v4, v4, v60, vcc
	s_or_b64 vcc, s[26:27], s[22:23]
	v_cndmask_b32_e32 v13, v29, v4, vcc
	s_branch .LBB6_516
.LBB6_581:                              ;   in Loop: Header=BB6_49 Depth=1
	s_or_b64 exec, exec, s[76:77]
	buffer_load_dword v18, off, s[0:3], s33 offset:72 ; 4-byte Folded Reload
	buffer_load_dword v19, off, s[0:3], s33 offset:76 ; 4-byte Folded Reload
	v_mov_b32_e32 v12, v58
	v_mov_b32_e32 v20, 1
	;; [unrolled: 1-line block ×4, first 2 shown]
.LBB6_582:                              ;   in Loop: Header=BB6_49 Depth=1
	s_or_b64 exec, exec, s[74:75]
	v_and_b32_e32 v0, 14, v56
	v_cmp_lt_i32_e32 vcc, 0, v26
	v_sub_u32_e32 v1, v25, v0
	v_cndmask_b32_e64 v56, v25, v0, s[20:21]
	v_cndmask_b32_e32 v0, 0, v44, vcc
	v_cndmask_b32_e64 v1, 0, v1, s[20:21]
	v_sub_u32_e32 v0, v0, v26
	v_cmp_ne_u32_e32 vcc, 0, v56
	v_add3_u32 v6, v24, v22, v1
	v_lshl_add_u32 v4, v0, 6, v23
	s_and_b64 s[20:21], vcc, exec
.LBB6_583:                              ;   in Loop: Header=BB6_49 Depth=1
	s_or_b64 exec, exec, s[72:73]
	buffer_load_dword v42, off, s[0:3], s33 offset:136 ; 4-byte Folded Reload
	buffer_load_dword v22, off, s[0:3], s33 offset:88 ; 4-byte Folded Reload
	;; [unrolled: 1-line block ×3, first 2 shown]
	s_and_saveexec_b64 s[72:73], s[20:21]
	s_cbranch_execz .LBB6_792
.LBB6_584:                              ;   in Loop: Header=BB6_49 Depth=1
	v_ashrrev_i32_e32 v0, 31, v4
	v_ashrrev_i32_e32 v1, 31, v56
	v_lshrrev_b32_e32 v0, 26, v0
	v_lshrrev_b32_e32 v1, 21, v1
	v_add_u32_e32 v0, v4, v0
	v_add_u32_e32 v1, v56, v1
	v_ashrrev_i32_e32 v5, 6, v0
	v_ashrrev_i32_e32 v1, 11, v1
	v_sub_u32_e32 v17, v1, v5
	v_cmp_lt_i32_e32 vcc, 0, v17
	s_and_saveexec_b64 s[74:75], vcc
	s_cbranch_execz .LBB6_780
; %bb.585:                              ;   in Loop: Header=BB6_49 Depth=1
	v_and_b32_e32 v0, 0x7fffffc0, v0
	v_sub_u32_e32 v0, v4, v0
	buffer_store_dword v1, off, s[0:3], s33 offset:212 ; 4-byte Folded Spill
	s_waitcnt vmcnt(0)
	buffer_store_dword v22, off, s[0:3], s33 offset:88 ; 4-byte Folded Spill
	s_waitcnt vmcnt(2)
	buffer_store_dword v23, off, s[0:3], s33 offset:92 ; 4-byte Folded Spill
	buffer_store_dword v50, off, s[0:3], s33 offset:96 ; 4-byte Folded Spill
	s_nop 0
	buffer_store_dword v51, off, s[0:3], s33 offset:100 ; 4-byte Folded Spill
	buffer_store_dword v52, off, s[0:3], s33 offset:104 ; 4-byte Folded Spill
	;; [unrolled: 1-line block ×3, first 2 shown]
	v_lshlrev_b32_e32 v0, 1, v0
	v_lshlrev_b32_e32 v1, 11, v5
	buffer_store_dword v6, off, s[0:3], s33 offset:184 ; 4-byte Folded Spill
	v_add3_u32 v6, v0, v6, v1
	buffer_store_dword v4, off, s[0:3], s33 offset:200 ; 4-byte Folded Spill
	buffer_store_dword v5, off, s[0:3], s33 offset:208 ; 4-byte Folded Spill
	s_trap 2
	ds_read_b64 v[4:5], v0
	v_add_co_u32_e32 v0, vcc, v6, v31
	buffer_store_dword v31, off, s[0:3], s33 offset:168 ; 4-byte Folded Spill
	s_nop 0
	buffer_store_dword v32, off, s[0:3], s33 offset:172 ; 4-byte Folded Spill
	v_ashrrev_i32_e32 v7, 31, v6
	v_mov_b32_e32 v8, v12
	s_bitcmp1_b32 s94, 0
	v_mov_b32_e32 v9, v13
	s_cselect_b64 s[76:77], -1, 0
	s_mov_b64 s[78:79], 0
	v_addc_co_u32_e32 v1, vcc, v7, v32, vcc
	s_waitcnt lgkmcnt(0)
	v_add_co_u32_e32 v10, vcc, v4, v6
	v_addc_co_u32_e32 v11, vcc, v5, v7, vcc
	v_add_co_u32_e32 v4, vcc, 0x780, v12
	v_addc_co_u32_e32 v5, vcc, 0, v13, vcc
	v_add_co_u32_e32 v12, vcc, v4, v6
	v_addc_co_u32_e32 v13, vcc, v5, v7, vcc
	s_branch .LBB6_589
.LBB6_586:                              ;   in Loop: Header=BB6_589 Depth=2
	s_or_b64 exec, exec, s[24:25]
	v_mov_b32_e32 v20, v19
.LBB6_587:                              ;   in Loop: Header=BB6_589 Depth=2
	s_or_b64 exec, exec, s[88:89]
	v_mov_b32_e32 v22, v20
.LBB6_588:                              ;   in Loop: Header=BB6_589 Depth=2
	v_add_co_u32_e32 v4, vcc, 0xfffff880, v12
	v_addc_co_u32_e32 v5, vcc, -1, v13, vcc
	flat_store_short v[4:5], v31 glc slc
	v_add_co_u32_e32 v4, vcc, 0xfffff900, v12
	v_addc_co_u32_e32 v5, vcc, -1, v13, vcc
	flat_store_short v[4:5], v14 glc slc
	;; [unrolled: 3-line block ×14, first 2 shown]
	v_add_co_u32_e32 v4, vcc, 0xffffff80, v12
	v_addc_co_u32_e32 v5, vcc, -1, v13, vcc
	v_add_co_u32_e32 v0, vcc, v0, v61
	v_addc_co_u32_e32 v1, vcc, 0, v1, vcc
	v_add_co_u32_e32 v10, vcc, v10, v61
	v_addc_co_u32_e32 v11, vcc, 0, v11, vcc
	v_sub_u32_e32 v17, v17, v44
	v_cmp_gt_i32_e32 vcc, 1, v17
	flat_store_short v[4:5], v24 glc slc
	flat_store_short v[12:13], v22 glc slc
	s_or_b64 s[78:79], vcc, s[78:79]
	v_add_co_u32_e32 v12, vcc, v12, v61
	v_addc_co_u32_e32 v13, vcc, 0, v13, vcc
	s_andn2_b64 exec, exec, s[78:79]
	s_cbranch_execz .LBB6_779
.LBB6_589:                              ;   Parent Loop BB6_49 Depth=1
                                        ; =>  This Inner Loop Header: Depth=2
	flat_load_ushort v14, v[0:1] glc slc
	flat_load_ushort v18, v[0:1] offset:128 glc slc
	flat_load_ushort v16, v[0:1] offset:256 glc slc
	;; [unrolled: 1-line block ×15, first 2 shown]
	flat_load_ushort v21, v[10:11] glc slc
	flat_load_ushort v25, v[10:11] offset:128 glc slc
	flat_load_ushort v27, v[10:11] offset:256 glc slc
	;; [unrolled: 1-line block ×15, first 2 shown]
	s_mov_b64 s[24:25], -1
	s_and_b64 vcc, exec, s[76:77]
                                        ; implicit-def: $vgpr31
	s_waitcnt vmcnt(0) lgkmcnt(0)
	v_and_b32_e32 v4, 0x7fff, v14
	v_cmp_lt_u16_e64 s[20:21], s35, v4
	v_and_b32_e32 v15, 0x7fff, v21
	v_cmp_gt_u16_e64 s[22:23], s36, v15
	s_and_b64 s[26:27], s[20:21], s[22:23]
	s_xor_b64 s[26:27], s[26:27], -1
	s_cbranch_vccz .LBB6_595
; %bb.590:                              ;   in Loop: Header=BB6_589 Depth=2
	v_mov_b32_e32 v31, v21
	s_and_saveexec_b64 s[88:89], s[26:27]
	s_cbranch_execz .LBB6_594
; %bb.591:                              ;   in Loop: Header=BB6_589 Depth=2
	s_or_b64 s[24:25], s[20:21], s[22:23]
	v_mov_b32_e32 v31, v14
	s_and_saveexec_b64 s[90:91], s[24:25]
; %bb.592:                              ;   in Loop: Header=BB6_589 Depth=2
	v_cmp_lt_u16_e32 vcc, s35, v15
	v_cmp_gt_f16_e64 s[24:25], v14, v21
	v_cndmask_b32_e64 v4, v21, v14, s[24:25]
	s_and_b64 vcc, s[20:21], vcc
	v_cndmask_b32_e32 v31, v4, v60, vcc
; %bb.593:                              ;   in Loop: Header=BB6_589 Depth=2
	s_or_b64 exec, exec, s[90:91]
.LBB6_594:                              ;   in Loop: Header=BB6_589 Depth=2
	s_or_b64 exec, exec, s[88:89]
	s_mov_b64 s[24:25], 0
.LBB6_595:                              ;   in Loop: Header=BB6_589 Depth=2
	s_andn2_b64 vcc, exec, s[24:25]
	s_cbranch_vccnz .LBB6_601
; %bb.596:                              ;   in Loop: Header=BB6_589 Depth=2
	s_and_saveexec_b64 s[24:25], s[26:27]
	s_cbranch_execz .LBB6_600
; %bb.597:                              ;   in Loop: Header=BB6_589 Depth=2
	s_or_b64 s[22:23], s[20:21], s[22:23]
	s_and_saveexec_b64 s[26:27], s[22:23]
; %bb.598:                              ;   in Loop: Header=BB6_589 Depth=2
	v_cmp_lt_u16_e32 vcc, s35, v15
	v_cmp_gt_f16_e64 s[22:23], v14, v21
	v_cndmask_b32_e64 v4, v14, v21, s[22:23]
	s_and_b64 vcc, s[20:21], vcc
	v_cndmask_b32_e32 v14, v4, v60, vcc
; %bb.599:                              ;   in Loop: Header=BB6_589 Depth=2
	s_or_b64 exec, exec, s[26:27]
	v_mov_b32_e32 v21, v14
.LBB6_600:                              ;   in Loop: Header=BB6_589 Depth=2
	s_or_b64 exec, exec, s[24:25]
	v_mov_b32_e32 v31, v21
.LBB6_601:                              ;   in Loop: Header=BB6_589 Depth=2
	v_and_b32_e32 v4, 0x7fff, v18
	v_and_b32_e32 v15, 0x7fff, v25
	v_cmp_lt_u16_e64 s[22:23], s35, v4
	v_cmp_gt_u16_e64 s[24:25], s36, v15
	s_and_b64 s[20:21], s[22:23], s[24:25]
	v_cndmask_b32_e64 v4, 0, 1, s[76:77]
	s_mov_b64 s[26:27], -1
	s_xor_b64 s[88:89], s[20:21], -1
	v_cmp_ne_u32_e64 s[20:21], 1, v4
	s_andn2_b64 vcc, exec, s[76:77]
                                        ; implicit-def: $vgpr14
	s_cbranch_vccnz .LBB6_607
; %bb.602:                              ;   in Loop: Header=BB6_589 Depth=2
	v_mov_b32_e32 v14, v25
	s_and_saveexec_b64 s[90:91], s[88:89]
	s_cbranch_execz .LBB6_606
; %bb.603:                              ;   in Loop: Header=BB6_589 Depth=2
	s_or_b64 s[26:27], s[22:23], s[24:25]
	v_mov_b32_e32 v14, v18
	s_and_saveexec_b64 s[92:93], s[26:27]
; %bb.604:                              ;   in Loop: Header=BB6_589 Depth=2
	v_cmp_lt_u16_e32 vcc, s35, v15
	v_cmp_gt_f16_e64 s[26:27], v18, v25
	v_cndmask_b32_e64 v4, v25, v18, s[26:27]
	s_and_b64 vcc, s[22:23], vcc
	v_cndmask_b32_e32 v14, v4, v60, vcc
; %bb.605:                              ;   in Loop: Header=BB6_589 Depth=2
	s_or_b64 exec, exec, s[92:93]
.LBB6_606:                              ;   in Loop: Header=BB6_589 Depth=2
	s_or_b64 exec, exec, s[90:91]
	s_mov_b64 s[26:27], 0
.LBB6_607:                              ;   in Loop: Header=BB6_589 Depth=2
	s_andn2_b64 vcc, exec, s[26:27]
	s_cbranch_vccnz .LBB6_613
; %bb.608:                              ;   in Loop: Header=BB6_589 Depth=2
	s_and_saveexec_b64 s[26:27], s[88:89]
	s_cbranch_execz .LBB6_612
; %bb.609:                              ;   in Loop: Header=BB6_589 Depth=2
	s_or_b64 s[24:25], s[22:23], s[24:25]
	s_and_saveexec_b64 s[88:89], s[24:25]
; %bb.610:                              ;   in Loop: Header=BB6_589 Depth=2
	v_cmp_lt_u16_e32 vcc, s35, v15
	v_cmp_gt_f16_e64 s[24:25], v18, v25
	v_cndmask_b32_e64 v4, v18, v25, s[24:25]
	s_and_b64 vcc, s[22:23], vcc
	v_cndmask_b32_e32 v18, v4, v60, vcc
; %bb.611:                              ;   in Loop: Header=BB6_589 Depth=2
	s_or_b64 exec, exec, s[88:89]
	v_mov_b32_e32 v25, v18
.LBB6_612:                              ;   in Loop: Header=BB6_589 Depth=2
	s_or_b64 exec, exec, s[26:27]
	v_mov_b32_e32 v14, v25
.LBB6_613:                              ;   in Loop: Header=BB6_589 Depth=2
	v_and_b32_e32 v4, 0x7fff, v16
	v_and_b32_e32 v15, 0x7fff, v27
	v_cmp_lt_u16_e64 s[22:23], s35, v4
	v_cmp_gt_u16_e64 s[24:25], s36, v15
	s_and_b64 s[88:89], s[22:23], s[24:25]
	s_mov_b64 s[26:27], -1
	s_and_b64 vcc, exec, s[20:21]
	s_xor_b64 s[88:89], s[88:89], -1
                                        ; implicit-def: $vgpr18
	s_cbranch_vccnz .LBB6_619
; %bb.614:                              ;   in Loop: Header=BB6_589 Depth=2
	v_mov_b32_e32 v18, v27
	s_and_saveexec_b64 s[90:91], s[88:89]
	s_cbranch_execz .LBB6_618
; %bb.615:                              ;   in Loop: Header=BB6_589 Depth=2
	s_or_b64 s[26:27], s[22:23], s[24:25]
	v_mov_b32_e32 v18, v16
	s_and_saveexec_b64 s[92:93], s[26:27]
; %bb.616:                              ;   in Loop: Header=BB6_589 Depth=2
	v_cmp_lt_u16_e32 vcc, s35, v15
	v_cmp_gt_f16_e64 s[26:27], v16, v27
	v_cndmask_b32_e64 v4, v27, v16, s[26:27]
	s_and_b64 vcc, s[22:23], vcc
	v_cndmask_b32_e32 v18, v4, v60, vcc
; %bb.617:                              ;   in Loop: Header=BB6_589 Depth=2
	s_or_b64 exec, exec, s[92:93]
.LBB6_618:                              ;   in Loop: Header=BB6_589 Depth=2
	s_or_b64 exec, exec, s[90:91]
	s_mov_b64 s[26:27], 0
.LBB6_619:                              ;   in Loop: Header=BB6_589 Depth=2
	s_andn2_b64 vcc, exec, s[26:27]
	s_cbranch_vccnz .LBB6_625
; %bb.620:                              ;   in Loop: Header=BB6_589 Depth=2
	s_and_saveexec_b64 s[26:27], s[88:89]
	s_cbranch_execz .LBB6_624
; %bb.621:                              ;   in Loop: Header=BB6_589 Depth=2
	s_or_b64 s[24:25], s[22:23], s[24:25]
	s_and_saveexec_b64 s[88:89], s[24:25]
; %bb.622:                              ;   in Loop: Header=BB6_589 Depth=2
	v_cmp_lt_u16_e32 vcc, s35, v15
	v_cmp_gt_f16_e64 s[24:25], v16, v27
	v_cndmask_b32_e64 v4, v16, v27, s[24:25]
	s_and_b64 vcc, s[22:23], vcc
	v_cndmask_b32_e32 v16, v4, v60, vcc
; %bb.623:                              ;   in Loop: Header=BB6_589 Depth=2
	s_or_b64 exec, exec, s[88:89]
	v_mov_b32_e32 v27, v16
.LBB6_624:                              ;   in Loop: Header=BB6_589 Depth=2
	s_or_b64 exec, exec, s[26:27]
	v_mov_b32_e32 v18, v27
.LBB6_625:                              ;   in Loop: Header=BB6_589 Depth=2
	v_and_b32_e32 v4, 0x7fff, v35
	v_and_b32_e32 v15, 0x7fff, v32
	v_cmp_lt_u16_e64 s[22:23], s35, v4
	v_cmp_gt_u16_e64 s[24:25], s36, v15
	s_and_b64 s[88:89], s[22:23], s[24:25]
	s_mov_b64 s[26:27], -1
	s_and_b64 vcc, exec, s[20:21]
	s_xor_b64 s[88:89], s[88:89], -1
                                        ; implicit-def: $vgpr16
	s_cbranch_vccnz .LBB6_631
; %bb.626:                              ;   in Loop: Header=BB6_589 Depth=2
	v_mov_b32_e32 v16, v32
	s_and_saveexec_b64 s[90:91], s[88:89]
	s_cbranch_execz .LBB6_630
; %bb.627:                              ;   in Loop: Header=BB6_589 Depth=2
	s_or_b64 s[26:27], s[22:23], s[24:25]
	v_mov_b32_e32 v16, v35
	s_and_saveexec_b64 s[92:93], s[26:27]
; %bb.628:                              ;   in Loop: Header=BB6_589 Depth=2
	v_cmp_lt_u16_e32 vcc, s35, v15
	v_cmp_gt_f16_e64 s[26:27], v35, v32
	v_cndmask_b32_e64 v4, v32, v35, s[26:27]
	s_and_b64 vcc, s[22:23], vcc
	v_cndmask_b32_e32 v16, v4, v60, vcc
; %bb.629:                              ;   in Loop: Header=BB6_589 Depth=2
	s_or_b64 exec, exec, s[92:93]
.LBB6_630:                              ;   in Loop: Header=BB6_589 Depth=2
	s_or_b64 exec, exec, s[90:91]
	s_mov_b64 s[26:27], 0
.LBB6_631:                              ;   in Loop: Header=BB6_589 Depth=2
	s_andn2_b64 vcc, exec, s[26:27]
	s_cbranch_vccnz .LBB6_637
; %bb.632:                              ;   in Loop: Header=BB6_589 Depth=2
	s_and_saveexec_b64 s[26:27], s[88:89]
	s_cbranch_execz .LBB6_636
; %bb.633:                              ;   in Loop: Header=BB6_589 Depth=2
	s_or_b64 s[24:25], s[22:23], s[24:25]
	s_and_saveexec_b64 s[88:89], s[24:25]
; %bb.634:                              ;   in Loop: Header=BB6_589 Depth=2
	v_cmp_lt_u16_e32 vcc, s35, v15
	v_cmp_gt_f16_e64 s[24:25], v35, v32
	v_cndmask_b32_e64 v4, v35, v32, s[24:25]
	s_and_b64 vcc, s[22:23], vcc
	v_cndmask_b32_e32 v35, v4, v60, vcc
; %bb.635:                              ;   in Loop: Header=BB6_589 Depth=2
	s_or_b64 exec, exec, s[88:89]
	v_mov_b32_e32 v32, v35
.LBB6_636:                              ;   in Loop: Header=BB6_589 Depth=2
	s_or_b64 exec, exec, s[26:27]
	v_mov_b32_e32 v16, v32
.LBB6_637:                              ;   in Loop: Header=BB6_589 Depth=2
	v_and_b32_e32 v4, 0x7fff, v38
	v_and_b32_e32 v15, 0x7fff, v59
	v_cmp_lt_u16_e64 s[22:23], s35, v4
	v_cmp_gt_u16_e64 s[24:25], s36, v15
	s_and_b64 s[88:89], s[22:23], s[24:25]
	s_mov_b64 s[26:27], -1
	s_and_b64 vcc, exec, s[20:21]
	s_xor_b64 s[88:89], s[88:89], -1
                                        ; implicit-def: $vgpr35
	s_cbranch_vccnz .LBB6_643
; %bb.638:                              ;   in Loop: Header=BB6_589 Depth=2
	v_mov_b32_e32 v35, v59
	s_and_saveexec_b64 s[90:91], s[88:89]
	s_cbranch_execz .LBB6_642
; %bb.639:                              ;   in Loop: Header=BB6_589 Depth=2
	s_or_b64 s[26:27], s[22:23], s[24:25]
	v_mov_b32_e32 v35, v38
	s_and_saveexec_b64 s[92:93], s[26:27]
; %bb.640:                              ;   in Loop: Header=BB6_589 Depth=2
	v_cmp_lt_u16_e32 vcc, s35, v15
	v_cmp_gt_f16_e64 s[26:27], v38, v59
	v_cndmask_b32_e64 v4, v59, v38, s[26:27]
	s_and_b64 vcc, s[22:23], vcc
	v_cndmask_b32_e32 v35, v4, v60, vcc
; %bb.641:                              ;   in Loop: Header=BB6_589 Depth=2
	s_or_b64 exec, exec, s[92:93]
.LBB6_642:                              ;   in Loop: Header=BB6_589 Depth=2
	s_or_b64 exec, exec, s[90:91]
	s_mov_b64 s[26:27], 0
.LBB6_643:                              ;   in Loop: Header=BB6_589 Depth=2
	s_andn2_b64 vcc, exec, s[26:27]
	s_cbranch_vccnz .LBB6_649
; %bb.644:                              ;   in Loop: Header=BB6_589 Depth=2
	s_and_saveexec_b64 s[26:27], s[88:89]
	s_cbranch_execz .LBB6_648
; %bb.645:                              ;   in Loop: Header=BB6_589 Depth=2
	s_or_b64 s[24:25], s[22:23], s[24:25]
	s_and_saveexec_b64 s[88:89], s[24:25]
; %bb.646:                              ;   in Loop: Header=BB6_589 Depth=2
	v_cmp_lt_u16_e32 vcc, s35, v15
	v_cmp_gt_f16_e64 s[24:25], v38, v59
	v_cndmask_b32_e64 v4, v38, v59, s[24:25]
	s_and_b64 vcc, s[22:23], vcc
	v_cndmask_b32_e32 v38, v4, v60, vcc
; %bb.647:                              ;   in Loop: Header=BB6_589 Depth=2
	s_or_b64 exec, exec, s[88:89]
	v_mov_b32_e32 v59, v38
.LBB6_648:                              ;   in Loop: Header=BB6_589 Depth=2
	s_or_b64 exec, exec, s[26:27]
	v_mov_b32_e32 v35, v59
.LBB6_649:                              ;   in Loop: Header=BB6_589 Depth=2
	v_and_b32_e32 v4, 0x7fff, v49
	v_and_b32_e32 v15, 0x7fff, v58
	v_cmp_lt_u16_e64 s[22:23], s35, v4
	v_cmp_gt_u16_e64 s[24:25], s36, v15
	s_and_b64 s[88:89], s[22:23], s[24:25]
	s_mov_b64 s[26:27], -1
	s_and_b64 vcc, exec, s[20:21]
	s_xor_b64 s[88:89], s[88:89], -1
                                        ; implicit-def: $vgpr38
	s_cbranch_vccnz .LBB6_655
; %bb.650:                              ;   in Loop: Header=BB6_589 Depth=2
	v_mov_b32_e32 v38, v58
	s_and_saveexec_b64 s[90:91], s[88:89]
	s_cbranch_execz .LBB6_654
; %bb.651:                              ;   in Loop: Header=BB6_589 Depth=2
	s_or_b64 s[26:27], s[22:23], s[24:25]
	v_mov_b32_e32 v38, v49
	s_and_saveexec_b64 s[92:93], s[26:27]
; %bb.652:                              ;   in Loop: Header=BB6_589 Depth=2
	v_cmp_lt_u16_e32 vcc, s35, v15
	v_cmp_gt_f16_e64 s[26:27], v49, v58
	v_cndmask_b32_e64 v4, v58, v49, s[26:27]
	s_and_b64 vcc, s[22:23], vcc
	v_cndmask_b32_e32 v38, v4, v60, vcc
; %bb.653:                              ;   in Loop: Header=BB6_589 Depth=2
	s_or_b64 exec, exec, s[92:93]
.LBB6_654:                              ;   in Loop: Header=BB6_589 Depth=2
	s_or_b64 exec, exec, s[90:91]
	s_mov_b64 s[26:27], 0
.LBB6_655:                              ;   in Loop: Header=BB6_589 Depth=2
	s_andn2_b64 vcc, exec, s[26:27]
	s_cbranch_vccnz .LBB6_661
; %bb.656:                              ;   in Loop: Header=BB6_589 Depth=2
	s_and_saveexec_b64 s[26:27], s[88:89]
	s_cbranch_execz .LBB6_660
; %bb.657:                              ;   in Loop: Header=BB6_589 Depth=2
	s_or_b64 s[24:25], s[22:23], s[24:25]
	s_and_saveexec_b64 s[88:89], s[24:25]
; %bb.658:                              ;   in Loop: Header=BB6_589 Depth=2
	v_cmp_lt_u16_e32 vcc, s35, v15
	v_cmp_gt_f16_e64 s[24:25], v49, v58
	v_cndmask_b32_e64 v4, v49, v58, s[24:25]
	s_and_b64 vcc, s[22:23], vcc
	v_cndmask_b32_e32 v49, v4, v60, vcc
; %bb.659:                              ;   in Loop: Header=BB6_589 Depth=2
	s_or_b64 exec, exec, s[88:89]
	v_mov_b32_e32 v58, v49
.LBB6_660:                              ;   in Loop: Header=BB6_589 Depth=2
	s_or_b64 exec, exec, s[26:27]
	v_mov_b32_e32 v38, v58
.LBB6_661:                              ;   in Loop: Header=BB6_589 Depth=2
	v_and_b32_e32 v4, 0x7fff, v52
	v_and_b32_e32 v15, 0x7fff, v43
	v_cmp_lt_u16_e64 s[22:23], s35, v4
	v_cmp_gt_u16_e64 s[24:25], s36, v15
	s_and_b64 s[88:89], s[22:23], s[24:25]
	s_mov_b64 s[26:27], -1
	s_and_b64 vcc, exec, s[20:21]
	s_xor_b64 s[88:89], s[88:89], -1
                                        ; implicit-def: $vgpr49
	s_cbranch_vccnz .LBB6_667
; %bb.662:                              ;   in Loop: Header=BB6_589 Depth=2
	v_mov_b32_e32 v49, v43
	s_and_saveexec_b64 s[90:91], s[88:89]
	s_cbranch_execz .LBB6_666
; %bb.663:                              ;   in Loop: Header=BB6_589 Depth=2
	s_or_b64 s[26:27], s[22:23], s[24:25]
	v_mov_b32_e32 v49, v52
	s_and_saveexec_b64 s[92:93], s[26:27]
; %bb.664:                              ;   in Loop: Header=BB6_589 Depth=2
	v_cmp_lt_u16_e32 vcc, s35, v15
	v_cmp_gt_f16_e64 s[26:27], v52, v43
	v_cndmask_b32_e64 v4, v43, v52, s[26:27]
	s_and_b64 vcc, s[22:23], vcc
	v_cndmask_b32_e32 v49, v4, v60, vcc
; %bb.665:                              ;   in Loop: Header=BB6_589 Depth=2
	s_or_b64 exec, exec, s[92:93]
.LBB6_666:                              ;   in Loop: Header=BB6_589 Depth=2
	s_or_b64 exec, exec, s[90:91]
	s_mov_b64 s[26:27], 0
.LBB6_667:                              ;   in Loop: Header=BB6_589 Depth=2
	s_andn2_b64 vcc, exec, s[26:27]
	s_cbranch_vccnz .LBB6_673
; %bb.668:                              ;   in Loop: Header=BB6_589 Depth=2
	s_and_saveexec_b64 s[26:27], s[88:89]
	s_cbranch_execz .LBB6_672
; %bb.669:                              ;   in Loop: Header=BB6_589 Depth=2
	s_or_b64 s[24:25], s[22:23], s[24:25]
	s_and_saveexec_b64 s[88:89], s[24:25]
; %bb.670:                              ;   in Loop: Header=BB6_589 Depth=2
	v_cmp_lt_u16_e32 vcc, s35, v15
	v_cmp_gt_f16_e64 s[24:25], v52, v43
	v_cndmask_b32_e64 v4, v52, v43, s[24:25]
	s_and_b64 vcc, s[22:23], vcc
	v_cndmask_b32_e32 v52, v4, v60, vcc
; %bb.671:                              ;   in Loop: Header=BB6_589 Depth=2
	s_or_b64 exec, exec, s[88:89]
	v_mov_b32_e32 v43, v52
.LBB6_672:                              ;   in Loop: Header=BB6_589 Depth=2
	s_or_b64 exec, exec, s[26:27]
	v_mov_b32_e32 v49, v43
.LBB6_673:                              ;   in Loop: Header=BB6_589 Depth=2
	v_and_b32_e32 v4, 0x7fff, v53
	v_and_b32_e32 v15, 0x7fff, v42
	v_cmp_lt_u16_e64 s[22:23], s35, v4
	v_cmp_gt_u16_e64 s[24:25], s36, v15
	s_and_b64 s[88:89], s[22:23], s[24:25]
	s_mov_b64 s[26:27], -1
	s_and_b64 vcc, exec, s[20:21]
	s_xor_b64 s[88:89], s[88:89], -1
                                        ; implicit-def: $vgpr52
	s_cbranch_vccnz .LBB6_679
; %bb.674:                              ;   in Loop: Header=BB6_589 Depth=2
	v_mov_b32_e32 v52, v42
	s_and_saveexec_b64 s[90:91], s[88:89]
	s_cbranch_execz .LBB6_678
; %bb.675:                              ;   in Loop: Header=BB6_589 Depth=2
	s_or_b64 s[26:27], s[22:23], s[24:25]
	v_mov_b32_e32 v52, v53
	s_and_saveexec_b64 s[92:93], s[26:27]
; %bb.676:                              ;   in Loop: Header=BB6_589 Depth=2
	v_cmp_lt_u16_e32 vcc, s35, v15
	v_cmp_gt_f16_e64 s[26:27], v53, v42
	v_cndmask_b32_e64 v4, v42, v53, s[26:27]
	s_and_b64 vcc, s[22:23], vcc
	v_cndmask_b32_e32 v52, v4, v60, vcc
; %bb.677:                              ;   in Loop: Header=BB6_589 Depth=2
	s_or_b64 exec, exec, s[92:93]
.LBB6_678:                              ;   in Loop: Header=BB6_589 Depth=2
	s_or_b64 exec, exec, s[90:91]
	s_mov_b64 s[26:27], 0
.LBB6_679:                              ;   in Loop: Header=BB6_589 Depth=2
	s_andn2_b64 vcc, exec, s[26:27]
	s_cbranch_vccnz .LBB6_685
; %bb.680:                              ;   in Loop: Header=BB6_589 Depth=2
	s_and_saveexec_b64 s[26:27], s[88:89]
	s_cbranch_execz .LBB6_684
; %bb.681:                              ;   in Loop: Header=BB6_589 Depth=2
	s_or_b64 s[24:25], s[22:23], s[24:25]
	s_and_saveexec_b64 s[88:89], s[24:25]
; %bb.682:                              ;   in Loop: Header=BB6_589 Depth=2
	v_cmp_lt_u16_e32 vcc, s35, v15
	v_cmp_gt_f16_e64 s[24:25], v53, v42
	v_cndmask_b32_e64 v4, v53, v42, s[24:25]
	s_and_b64 vcc, s[22:23], vcc
	v_cndmask_b32_e32 v53, v4, v60, vcc
; %bb.683:                              ;   in Loop: Header=BB6_589 Depth=2
	s_or_b64 exec, exec, s[88:89]
	v_mov_b32_e32 v42, v53
.LBB6_684:                              ;   in Loop: Header=BB6_589 Depth=2
	s_or_b64 exec, exec, s[26:27]
	v_mov_b32_e32 v52, v42
.LBB6_685:                              ;   in Loop: Header=BB6_589 Depth=2
	v_and_b32_e32 v4, 0x7fff, v50
	v_and_b32_e32 v15, 0x7fff, v51
	v_cmp_lt_u16_e64 s[22:23], s35, v4
	v_cmp_gt_u16_e64 s[24:25], s36, v15
	s_and_b64 s[88:89], s[22:23], s[24:25]
	s_mov_b64 s[26:27], -1
	s_and_b64 vcc, exec, s[20:21]
	s_xor_b64 s[88:89], s[88:89], -1
                                        ; implicit-def: $vgpr53
	s_cbranch_vccnz .LBB6_691
; %bb.686:                              ;   in Loop: Header=BB6_589 Depth=2
	v_mov_b32_e32 v53, v51
	s_and_saveexec_b64 s[90:91], s[88:89]
	s_cbranch_execz .LBB6_690
; %bb.687:                              ;   in Loop: Header=BB6_589 Depth=2
	s_or_b64 s[26:27], s[22:23], s[24:25]
	v_mov_b32_e32 v53, v50
	s_and_saveexec_b64 s[92:93], s[26:27]
; %bb.688:                              ;   in Loop: Header=BB6_589 Depth=2
	v_cmp_lt_u16_e32 vcc, s35, v15
	v_cmp_gt_f16_e64 s[26:27], v50, v51
	v_cndmask_b32_e64 v4, v51, v50, s[26:27]
	s_and_b64 vcc, s[22:23], vcc
	v_cndmask_b32_e32 v53, v4, v60, vcc
; %bb.689:                              ;   in Loop: Header=BB6_589 Depth=2
	s_or_b64 exec, exec, s[92:93]
.LBB6_690:                              ;   in Loop: Header=BB6_589 Depth=2
	s_or_b64 exec, exec, s[90:91]
	s_mov_b64 s[26:27], 0
.LBB6_691:                              ;   in Loop: Header=BB6_589 Depth=2
	s_andn2_b64 vcc, exec, s[26:27]
	s_cbranch_vccnz .LBB6_697
; %bb.692:                              ;   in Loop: Header=BB6_589 Depth=2
	s_and_saveexec_b64 s[26:27], s[88:89]
	s_cbranch_execz .LBB6_696
; %bb.693:                              ;   in Loop: Header=BB6_589 Depth=2
	s_or_b64 s[24:25], s[22:23], s[24:25]
	s_and_saveexec_b64 s[88:89], s[24:25]
; %bb.694:                              ;   in Loop: Header=BB6_589 Depth=2
	v_cmp_lt_u16_e32 vcc, s35, v15
	v_cmp_gt_f16_e64 s[24:25], v50, v51
	v_cndmask_b32_e64 v4, v50, v51, s[24:25]
	s_and_b64 vcc, s[22:23], vcc
	v_cndmask_b32_e32 v50, v4, v60, vcc
; %bb.695:                              ;   in Loop: Header=BB6_589 Depth=2
	s_or_b64 exec, exec, s[88:89]
	v_mov_b32_e32 v51, v50
.LBB6_696:                              ;   in Loop: Header=BB6_589 Depth=2
	s_or_b64 exec, exec, s[26:27]
	v_mov_b32_e32 v53, v51
.LBB6_697:                              ;   in Loop: Header=BB6_589 Depth=2
	v_and_b32_e32 v4, 0x7fff, v39
	v_and_b32_e32 v15, 0x7fff, v48
	v_cmp_lt_u16_e64 s[22:23], s35, v4
	v_cmp_gt_u16_e64 s[24:25], s36, v15
	s_and_b64 s[88:89], s[22:23], s[24:25]
	s_mov_b64 s[26:27], -1
	s_and_b64 vcc, exec, s[20:21]
	s_xor_b64 s[88:89], s[88:89], -1
                                        ; implicit-def: $vgpr50
	s_cbranch_vccnz .LBB6_703
; %bb.698:                              ;   in Loop: Header=BB6_589 Depth=2
	v_mov_b32_e32 v50, v48
	s_and_saveexec_b64 s[90:91], s[88:89]
	s_cbranch_execz .LBB6_702
; %bb.699:                              ;   in Loop: Header=BB6_589 Depth=2
	s_or_b64 s[26:27], s[22:23], s[24:25]
	v_mov_b32_e32 v50, v39
	s_and_saveexec_b64 s[92:93], s[26:27]
; %bb.700:                              ;   in Loop: Header=BB6_589 Depth=2
	v_cmp_lt_u16_e32 vcc, s35, v15
	v_cmp_gt_f16_e64 s[26:27], v39, v48
	v_cndmask_b32_e64 v4, v48, v39, s[26:27]
	s_and_b64 vcc, s[22:23], vcc
	v_cndmask_b32_e32 v50, v4, v60, vcc
; %bb.701:                              ;   in Loop: Header=BB6_589 Depth=2
	s_or_b64 exec, exec, s[92:93]
.LBB6_702:                              ;   in Loop: Header=BB6_589 Depth=2
	s_or_b64 exec, exec, s[90:91]
	s_mov_b64 s[26:27], 0
.LBB6_703:                              ;   in Loop: Header=BB6_589 Depth=2
	s_andn2_b64 vcc, exec, s[26:27]
	s_cbranch_vccnz .LBB6_709
; %bb.704:                              ;   in Loop: Header=BB6_589 Depth=2
	s_and_saveexec_b64 s[26:27], s[88:89]
	s_cbranch_execz .LBB6_708
; %bb.705:                              ;   in Loop: Header=BB6_589 Depth=2
	s_or_b64 s[24:25], s[22:23], s[24:25]
	s_and_saveexec_b64 s[88:89], s[24:25]
; %bb.706:                              ;   in Loop: Header=BB6_589 Depth=2
	v_cmp_lt_u16_e32 vcc, s35, v15
	v_cmp_gt_f16_e64 s[24:25], v39, v48
	v_cndmask_b32_e64 v4, v39, v48, s[24:25]
	s_and_b64 vcc, s[22:23], vcc
	v_cndmask_b32_e32 v39, v4, v60, vcc
; %bb.707:                              ;   in Loop: Header=BB6_589 Depth=2
	s_or_b64 exec, exec, s[88:89]
	v_mov_b32_e32 v48, v39
.LBB6_708:                              ;   in Loop: Header=BB6_589 Depth=2
	s_or_b64 exec, exec, s[26:27]
	v_mov_b32_e32 v50, v48
.LBB6_709:                              ;   in Loop: Header=BB6_589 Depth=2
	v_and_b32_e32 v4, 0x7fff, v36
	v_and_b32_e32 v15, 0x7fff, v37
	v_cmp_lt_u16_e64 s[22:23], s35, v4
	v_cmp_gt_u16_e64 s[24:25], s36, v15
	s_and_b64 s[88:89], s[22:23], s[24:25]
	s_mov_b64 s[26:27], -1
	s_and_b64 vcc, exec, s[20:21]
	s_xor_b64 s[88:89], s[88:89], -1
                                        ; implicit-def: $vgpr39
	s_cbranch_vccnz .LBB6_715
; %bb.710:                              ;   in Loop: Header=BB6_589 Depth=2
	v_mov_b32_e32 v39, v37
	s_and_saveexec_b64 s[90:91], s[88:89]
	s_cbranch_execz .LBB6_714
; %bb.711:                              ;   in Loop: Header=BB6_589 Depth=2
	s_or_b64 s[26:27], s[22:23], s[24:25]
	v_mov_b32_e32 v39, v36
	s_and_saveexec_b64 s[92:93], s[26:27]
; %bb.712:                              ;   in Loop: Header=BB6_589 Depth=2
	v_cmp_lt_u16_e32 vcc, s35, v15
	v_cmp_gt_f16_e64 s[26:27], v36, v37
	v_cndmask_b32_e64 v4, v37, v36, s[26:27]
	s_and_b64 vcc, s[22:23], vcc
	v_cndmask_b32_e32 v39, v4, v60, vcc
; %bb.713:                              ;   in Loop: Header=BB6_589 Depth=2
	s_or_b64 exec, exec, s[92:93]
.LBB6_714:                              ;   in Loop: Header=BB6_589 Depth=2
	s_or_b64 exec, exec, s[90:91]
	s_mov_b64 s[26:27], 0
.LBB6_715:                              ;   in Loop: Header=BB6_589 Depth=2
	s_andn2_b64 vcc, exec, s[26:27]
	s_cbranch_vccnz .LBB6_721
; %bb.716:                              ;   in Loop: Header=BB6_589 Depth=2
	s_and_saveexec_b64 s[26:27], s[88:89]
	s_cbranch_execz .LBB6_720
; %bb.717:                              ;   in Loop: Header=BB6_589 Depth=2
	s_or_b64 s[24:25], s[22:23], s[24:25]
	s_and_saveexec_b64 s[88:89], s[24:25]
; %bb.718:                              ;   in Loop: Header=BB6_589 Depth=2
	v_cmp_lt_u16_e32 vcc, s35, v15
	v_cmp_gt_f16_e64 s[24:25], v36, v37
	v_cndmask_b32_e64 v4, v36, v37, s[24:25]
	s_and_b64 vcc, s[22:23], vcc
	v_cndmask_b32_e32 v36, v4, v60, vcc
; %bb.719:                              ;   in Loop: Header=BB6_589 Depth=2
	s_or_b64 exec, exec, s[88:89]
	v_mov_b32_e32 v37, v36
.LBB6_720:                              ;   in Loop: Header=BB6_589 Depth=2
	s_or_b64 exec, exec, s[26:27]
	v_mov_b32_e32 v39, v37
.LBB6_721:                              ;   in Loop: Header=BB6_589 Depth=2
	v_and_b32_e32 v4, 0x7fff, v33
	v_and_b32_e32 v15, 0x7fff, v34
	v_cmp_lt_u16_e64 s[22:23], s35, v4
	v_cmp_gt_u16_e64 s[24:25], s36, v15
	s_and_b64 s[88:89], s[22:23], s[24:25]
	s_mov_b64 s[26:27], -1
	s_and_b64 vcc, exec, s[20:21]
	s_xor_b64 s[88:89], s[88:89], -1
                                        ; implicit-def: $vgpr36
	s_cbranch_vccnz .LBB6_727
; %bb.722:                              ;   in Loop: Header=BB6_589 Depth=2
	v_mov_b32_e32 v36, v34
	s_and_saveexec_b64 s[90:91], s[88:89]
	s_cbranch_execz .LBB6_726
; %bb.723:                              ;   in Loop: Header=BB6_589 Depth=2
	s_or_b64 s[26:27], s[22:23], s[24:25]
	v_mov_b32_e32 v36, v33
	s_and_saveexec_b64 s[92:93], s[26:27]
; %bb.724:                              ;   in Loop: Header=BB6_589 Depth=2
	v_cmp_lt_u16_e32 vcc, s35, v15
	v_cmp_gt_f16_e64 s[26:27], v33, v34
	v_cndmask_b32_e64 v4, v34, v33, s[26:27]
	s_and_b64 vcc, s[22:23], vcc
	v_cndmask_b32_e32 v36, v4, v60, vcc
; %bb.725:                              ;   in Loop: Header=BB6_589 Depth=2
	s_or_b64 exec, exec, s[92:93]
.LBB6_726:                              ;   in Loop: Header=BB6_589 Depth=2
	s_or_b64 exec, exec, s[90:91]
	s_mov_b64 s[26:27], 0
.LBB6_727:                              ;   in Loop: Header=BB6_589 Depth=2
	s_andn2_b64 vcc, exec, s[26:27]
	s_cbranch_vccnz .LBB6_733
; %bb.728:                              ;   in Loop: Header=BB6_589 Depth=2
	s_and_saveexec_b64 s[26:27], s[88:89]
	s_cbranch_execz .LBB6_732
; %bb.729:                              ;   in Loop: Header=BB6_589 Depth=2
	s_or_b64 s[24:25], s[22:23], s[24:25]
	s_and_saveexec_b64 s[88:89], s[24:25]
; %bb.730:                              ;   in Loop: Header=BB6_589 Depth=2
	v_cmp_lt_u16_e32 vcc, s35, v15
	v_cmp_gt_f16_e64 s[24:25], v33, v34
	v_cndmask_b32_e64 v4, v33, v34, s[24:25]
	s_and_b64 vcc, s[22:23], vcc
	v_cndmask_b32_e32 v33, v4, v60, vcc
; %bb.731:                              ;   in Loop: Header=BB6_589 Depth=2
	s_or_b64 exec, exec, s[88:89]
	v_mov_b32_e32 v34, v33
.LBB6_732:                              ;   in Loop: Header=BB6_589 Depth=2
	s_or_b64 exec, exec, s[26:27]
	v_mov_b32_e32 v36, v34
.LBB6_733:                              ;   in Loop: Header=BB6_589 Depth=2
	v_and_b32_e32 v4, 0x7fff, v28
	v_and_b32_e32 v15, 0x7fff, v29
	v_cmp_lt_u16_e64 s[22:23], s35, v4
	v_cmp_gt_u16_e64 s[24:25], s36, v15
	s_and_b64 s[88:89], s[22:23], s[24:25]
	s_mov_b64 s[26:27], -1
	s_and_b64 vcc, exec, s[20:21]
	s_xor_b64 s[88:89], s[88:89], -1
                                        ; implicit-def: $vgpr33
	s_cbranch_vccnz .LBB6_739
; %bb.734:                              ;   in Loop: Header=BB6_589 Depth=2
	v_mov_b32_e32 v33, v29
	s_and_saveexec_b64 s[90:91], s[88:89]
	s_cbranch_execz .LBB6_738
; %bb.735:                              ;   in Loop: Header=BB6_589 Depth=2
	s_or_b64 s[26:27], s[22:23], s[24:25]
	v_mov_b32_e32 v33, v28
	s_and_saveexec_b64 s[92:93], s[26:27]
; %bb.736:                              ;   in Loop: Header=BB6_589 Depth=2
	v_cmp_lt_u16_e32 vcc, s35, v15
	v_cmp_gt_f16_e64 s[26:27], v28, v29
	v_cndmask_b32_e64 v4, v29, v28, s[26:27]
	s_and_b64 vcc, s[22:23], vcc
	v_cndmask_b32_e32 v33, v4, v60, vcc
; %bb.737:                              ;   in Loop: Header=BB6_589 Depth=2
	s_or_b64 exec, exec, s[92:93]
.LBB6_738:                              ;   in Loop: Header=BB6_589 Depth=2
	s_or_b64 exec, exec, s[90:91]
	s_mov_b64 s[26:27], 0
.LBB6_739:                              ;   in Loop: Header=BB6_589 Depth=2
	s_andn2_b64 vcc, exec, s[26:27]
	s_cbranch_vccnz .LBB6_745
; %bb.740:                              ;   in Loop: Header=BB6_589 Depth=2
	s_and_saveexec_b64 s[26:27], s[88:89]
	s_cbranch_execz .LBB6_744
; %bb.741:                              ;   in Loop: Header=BB6_589 Depth=2
	s_or_b64 s[24:25], s[22:23], s[24:25]
	s_and_saveexec_b64 s[88:89], s[24:25]
; %bb.742:                              ;   in Loop: Header=BB6_589 Depth=2
	v_cmp_lt_u16_e32 vcc, s35, v15
	v_cmp_gt_f16_e64 s[24:25], v28, v29
	v_cndmask_b32_e64 v4, v28, v29, s[24:25]
	s_and_b64 vcc, s[22:23], vcc
	v_cndmask_b32_e32 v28, v4, v60, vcc
; %bb.743:                              ;   in Loop: Header=BB6_589 Depth=2
	s_or_b64 exec, exec, s[88:89]
	v_mov_b32_e32 v29, v28
.LBB6_744:                              ;   in Loop: Header=BB6_589 Depth=2
	s_or_b64 exec, exec, s[26:27]
	v_mov_b32_e32 v33, v29
.LBB6_745:                              ;   in Loop: Header=BB6_589 Depth=2
	v_and_b32_e32 v4, 0x7fff, v24
	v_and_b32_e32 v15, 0x7fff, v26
	v_cmp_lt_u16_e64 s[22:23], s35, v4
	v_cmp_gt_u16_e64 s[24:25], s36, v15
	s_and_b64 s[88:89], s[22:23], s[24:25]
	s_mov_b64 s[26:27], -1
	s_and_b64 vcc, exec, s[20:21]
	s_xor_b64 s[88:89], s[88:89], -1
                                        ; implicit-def: $vgpr28
	s_cbranch_vccnz .LBB6_751
; %bb.746:                              ;   in Loop: Header=BB6_589 Depth=2
	v_mov_b32_e32 v28, v26
	s_and_saveexec_b64 s[90:91], s[88:89]
	s_cbranch_execz .LBB6_750
; %bb.747:                              ;   in Loop: Header=BB6_589 Depth=2
	s_or_b64 s[26:27], s[22:23], s[24:25]
	v_mov_b32_e32 v28, v24
	s_and_saveexec_b64 s[92:93], s[26:27]
; %bb.748:                              ;   in Loop: Header=BB6_589 Depth=2
	v_cmp_lt_u16_e32 vcc, s35, v15
	v_cmp_gt_f16_e64 s[26:27], v24, v26
	v_cndmask_b32_e64 v4, v26, v24, s[26:27]
	s_and_b64 vcc, s[22:23], vcc
	v_cndmask_b32_e32 v28, v4, v60, vcc
; %bb.749:                              ;   in Loop: Header=BB6_589 Depth=2
	s_or_b64 exec, exec, s[92:93]
.LBB6_750:                              ;   in Loop: Header=BB6_589 Depth=2
	s_or_b64 exec, exec, s[90:91]
	s_mov_b64 s[26:27], 0
.LBB6_751:                              ;   in Loop: Header=BB6_589 Depth=2
	s_andn2_b64 vcc, exec, s[26:27]
	s_cbranch_vccnz .LBB6_757
; %bb.752:                              ;   in Loop: Header=BB6_589 Depth=2
	s_and_saveexec_b64 s[26:27], s[88:89]
	s_cbranch_execz .LBB6_756
; %bb.753:                              ;   in Loop: Header=BB6_589 Depth=2
	s_or_b64 s[24:25], s[22:23], s[24:25]
	s_and_saveexec_b64 s[88:89], s[24:25]
; %bb.754:                              ;   in Loop: Header=BB6_589 Depth=2
	v_cmp_lt_u16_e32 vcc, s35, v15
	v_cmp_gt_f16_e64 s[24:25], v24, v26
	v_cndmask_b32_e64 v4, v24, v26, s[24:25]
	s_and_b64 vcc, s[22:23], vcc
	v_cndmask_b32_e32 v24, v4, v60, vcc
; %bb.755:                              ;   in Loop: Header=BB6_589 Depth=2
	s_or_b64 exec, exec, s[88:89]
	v_mov_b32_e32 v26, v24
.LBB6_756:                              ;   in Loop: Header=BB6_589 Depth=2
	s_or_b64 exec, exec, s[26:27]
	v_mov_b32_e32 v28, v26
.LBB6_757:                              ;   in Loop: Header=BB6_589 Depth=2
	v_and_b32_e32 v4, 0x7fff, v22
	v_and_b32_e32 v15, 0x7fff, v23
	v_cmp_lt_u16_e64 s[22:23], s35, v4
	v_cmp_gt_u16_e64 s[24:25], s36, v15
	s_and_b64 s[88:89], s[22:23], s[24:25]
	s_mov_b64 s[26:27], -1
	s_and_b64 vcc, exec, s[20:21]
	s_xor_b64 s[88:89], s[88:89], -1
                                        ; implicit-def: $vgpr24
	s_cbranch_vccnz .LBB6_763
; %bb.758:                              ;   in Loop: Header=BB6_589 Depth=2
	v_mov_b32_e32 v24, v23
	s_and_saveexec_b64 s[90:91], s[88:89]
	s_cbranch_execz .LBB6_762
; %bb.759:                              ;   in Loop: Header=BB6_589 Depth=2
	s_or_b64 s[26:27], s[22:23], s[24:25]
	v_mov_b32_e32 v24, v22
	s_and_saveexec_b64 s[92:93], s[26:27]
; %bb.760:                              ;   in Loop: Header=BB6_589 Depth=2
	v_cmp_lt_u16_e32 vcc, s35, v15
	v_cmp_gt_f16_e64 s[26:27], v22, v23
	v_cndmask_b32_e64 v4, v23, v22, s[26:27]
	s_and_b64 vcc, s[22:23], vcc
	v_cndmask_b32_e32 v24, v4, v60, vcc
; %bb.761:                              ;   in Loop: Header=BB6_589 Depth=2
	s_or_b64 exec, exec, s[92:93]
.LBB6_762:                              ;   in Loop: Header=BB6_589 Depth=2
	s_or_b64 exec, exec, s[90:91]
	s_mov_b64 s[26:27], 0
.LBB6_763:                              ;   in Loop: Header=BB6_589 Depth=2
	s_andn2_b64 vcc, exec, s[26:27]
	s_cbranch_vccnz .LBB6_769
; %bb.764:                              ;   in Loop: Header=BB6_589 Depth=2
	s_and_saveexec_b64 s[26:27], s[88:89]
	s_cbranch_execz .LBB6_768
; %bb.765:                              ;   in Loop: Header=BB6_589 Depth=2
	s_or_b64 s[24:25], s[22:23], s[24:25]
	s_and_saveexec_b64 s[88:89], s[24:25]
; %bb.766:                              ;   in Loop: Header=BB6_589 Depth=2
	v_cmp_lt_u16_e32 vcc, s35, v15
	v_cmp_gt_f16_e64 s[24:25], v22, v23
	v_cndmask_b32_e64 v4, v22, v23, s[24:25]
	s_and_b64 vcc, s[22:23], vcc
	v_cndmask_b32_e32 v22, v4, v60, vcc
; %bb.767:                              ;   in Loop: Header=BB6_589 Depth=2
	s_or_b64 exec, exec, s[88:89]
	v_mov_b32_e32 v23, v22
.LBB6_768:                              ;   in Loop: Header=BB6_589 Depth=2
	s_or_b64 exec, exec, s[26:27]
	v_mov_b32_e32 v24, v23
.LBB6_769:                              ;   in Loop: Header=BB6_589 Depth=2
	v_and_b32_e32 v4, 0x7fff, v19
	v_and_b32_e32 v15, 0x7fff, v20
	v_cmp_lt_u16_e64 s[22:23], s35, v4
	v_cmp_gt_u16_e64 s[24:25], s36, v15
	s_and_b64 s[26:27], s[22:23], s[24:25]
	s_mov_b64 s[88:89], -1
	s_and_b64 vcc, exec, s[20:21]
	s_xor_b64 s[26:27], s[26:27], -1
                                        ; implicit-def: $vgpr22
	s_cbranch_vccnz .LBB6_775
; %bb.770:                              ;   in Loop: Header=BB6_589 Depth=2
	v_mov_b32_e32 v22, v20
	s_and_saveexec_b64 s[88:89], s[26:27]
	s_cbranch_execz .LBB6_774
; %bb.771:                              ;   in Loop: Header=BB6_589 Depth=2
	s_or_b64 s[20:21], s[22:23], s[24:25]
	v_mov_b32_e32 v22, v19
	s_and_saveexec_b64 s[90:91], s[20:21]
; %bb.772:                              ;   in Loop: Header=BB6_589 Depth=2
	v_cmp_lt_u16_e32 vcc, s35, v15
	v_cmp_gt_f16_e64 s[20:21], v19, v20
	v_cndmask_b32_e64 v4, v20, v19, s[20:21]
	s_and_b64 vcc, s[22:23], vcc
	v_cndmask_b32_e32 v22, v4, v60, vcc
; %bb.773:                              ;   in Loop: Header=BB6_589 Depth=2
	s_or_b64 exec, exec, s[90:91]
.LBB6_774:                              ;   in Loop: Header=BB6_589 Depth=2
	s_or_b64 exec, exec, s[88:89]
	s_mov_b64 s[88:89], 0
.LBB6_775:                              ;   in Loop: Header=BB6_589 Depth=2
	s_andn2_b64 vcc, exec, s[88:89]
	s_cbranch_vccnz .LBB6_588
; %bb.776:                              ;   in Loop: Header=BB6_589 Depth=2
	s_and_saveexec_b64 s[88:89], s[26:27]
	s_cbranch_execz .LBB6_587
; %bb.777:                              ;   in Loop: Header=BB6_589 Depth=2
	s_or_b64 s[20:21], s[22:23], s[24:25]
	s_and_saveexec_b64 s[24:25], s[20:21]
	s_cbranch_execz .LBB6_586
; %bb.778:                              ;   in Loop: Header=BB6_589 Depth=2
	v_cmp_lt_u16_e32 vcc, s35, v15
	v_cmp_gt_f16_e64 s[20:21], v19, v20
	v_cndmask_b32_e64 v4, v19, v20, s[20:21]
	s_and_b64 vcc, s[22:23], vcc
	v_cndmask_b32_e32 v19, v4, v60, vcc
	s_branch .LBB6_586
.LBB6_779:                              ;   in Loop: Header=BB6_49 Depth=1
	s_or_b64 exec, exec, s[78:79]
	buffer_load_dword v43, off, s[0:3], s33 offset:140 ; 4-byte Folded Reload
	buffer_load_dword v36, off, s[0:3], s33 offset:112 ; 4-byte Folded Reload
	;; [unrolled: 1-line block ×27, first 2 shown]
	v_mov_b32_e32 v13, v9
	v_mov_b32_e32 v20, 1
	s_waitcnt vmcnt(0)
	v_mov_b32_e32 v38, 0xc8
	v_mov_b32_e32 v39, 0x90
	v_mov_b32_e32 v12, v8
.LBB6_780:                              ;   in Loop: Header=BB6_49 Depth=1
	s_or_b64 exec, exec, s[74:75]
	v_lshlrev_b32_e32 v0, 11, v1
	v_cmp_ne_u32_e32 vcc, v56, v0
	s_and_b64 exec, exec, vcc
	s_cbranch_execz .LBB6_792
; %bb.781:                              ;   in Loop: Header=BB6_49 Depth=1
	v_lshlrev_b32_e32 v1, 6, v5
	v_sub_u32_e32 v1, v4, v1
	v_lshlrev_b32_e32 v4, 6, v17
	v_sub_u32_e32 v1, v1, v4
	v_ashrrev_i32_e32 v4, 31, v1
	v_lshrrev_b32_e32 v4, 26, v4
	v_add_u32_e32 v4, v1, v4
	v_and_b32_e32 v5, 0x7fffffc0, v4
	v_sub_u32_e32 v1, v1, v5
	v_lshlrev_b32_e32 v4, 1, v4
	v_and_b32_e32 v4, 0xffffff80, v4
	v_lshlrev_b32_e32 v1, 1, v1
	v_add3_u32 v0, v4, v1, v0
	v_sub_u32_e32 v14, v56, v0
	v_cmp_lt_i32_e32 vcc, 1, v14
	s_and_b64 exec, exec, vcc
	s_cbranch_execz .LBB6_792
; %bb.782:                              ;   in Loop: Header=BB6_49 Depth=1
	s_trap 2
	ds_read_b64 v[4:5], v0
	v_add_u32_e32 v6, v0, v6
	v_ashrrev_i32_e32 v7, 31, v6
	v_add_co_u32_e32 v0, vcc, v6, v31
	v_addc_co_u32_e32 v1, vcc, v7, v32, vcc
	s_waitcnt lgkmcnt(0)
	v_add_co_u32_e32 v10, vcc, v4, v6
	v_addc_co_u32_e32 v11, vcc, v5, v7, vcc
	v_add_co_u32_e32 v12, vcc, v6, v12
	s_bitcmp1_b32 s94, 0
	v_addc_co_u32_e32 v13, vcc, v7, v13, vcc
	s_mov_b64 s[26:27], 0
	s_cselect_b64 s[74:75], -1, 0
	s_branch .LBB6_785
.LBB6_783:                              ;   in Loop: Header=BB6_785 Depth=2
	s_or_b64 exec, exec, s[78:79]
	v_mov_b32_e32 v17, v15
.LBB6_784:                              ;   in Loop: Header=BB6_785 Depth=2
	v_add_co_u32_e32 v0, vcc, v0, v62
	v_addc_co_u32_e32 v1, vcc, 0, v1, vcc
	v_add_co_u32_e32 v10, vcc, v10, v62
	v_addc_co_u32_e32 v11, vcc, 0, v11, vcc
	v_sub_u32_e32 v14, v14, v62
	v_cmp_gt_i32_e32 vcc, 2, v14
	flat_store_short v[12:13], v17 glc slc
	s_or_b64 s[26:27], vcc, s[26:27]
	v_add_co_u32_e32 v12, vcc, v12, v62
	v_addc_co_u32_e32 v13, vcc, 0, v13, vcc
	s_andn2_b64 exec, exec, s[26:27]
	s_cbranch_execz .LBB6_792
.LBB6_785:                              ;   Parent Loop BB6_49 Depth=1
                                        ; =>  This Inner Loop Header: Depth=2
	flat_load_ushort v15, v[10:11] glc slc
	flat_load_ushort v16, v[0:1] glc slc
	s_mov_b64 s[78:79], -1
	s_and_b64 vcc, exec, s[74:75]
                                        ; implicit-def: $vgpr17
	s_waitcnt vmcnt(0) lgkmcnt(0)
	v_and_b32_e32 v4, 0x7fff, v15
	v_and_b32_e32 v5, 0x7fff, v16
	v_cmp_gt_u16_e64 s[20:21], s36, v4
	v_cmp_lt_u16_e64 s[22:23], s35, v5
	s_and_b64 s[76:77], s[22:23], s[20:21]
	v_cmp_lt_u16_e64 s[24:25], s35, v4
	s_xor_b64 s[76:77], s[76:77], -1
	s_cbranch_vccz .LBB6_789
; %bb.786:                              ;   in Loop: Header=BB6_785 Depth=2
	v_mov_b32_e32 v17, v15
	s_and_saveexec_b64 s[78:79], s[76:77]
; %bb.787:                              ;   in Loop: Header=BB6_785 Depth=2
	v_cmp_gt_f16_e32 vcc, v16, v15
	v_cndmask_b32_e32 v4, v15, v16, vcc
	s_and_b64 vcc, s[22:23], s[24:25]
	v_cndmask_b32_e32 v4, v4, v60, vcc
	s_or_b64 vcc, s[22:23], s[20:21]
	v_cndmask_b32_e32 v17, v16, v4, vcc
; %bb.788:                              ;   in Loop: Header=BB6_785 Depth=2
	s_or_b64 exec, exec, s[78:79]
	s_mov_b64 s[78:79], 0
.LBB6_789:                              ;   in Loop: Header=BB6_785 Depth=2
	s_andn2_b64 vcc, exec, s[78:79]
	s_cbranch_vccnz .LBB6_784
; %bb.790:                              ;   in Loop: Header=BB6_785 Depth=2
	s_and_saveexec_b64 s[78:79], s[76:77]
	s_cbranch_execz .LBB6_783
; %bb.791:                              ;   in Loop: Header=BB6_785 Depth=2
	v_cmp_gt_f16_e32 vcc, v16, v15
	v_cndmask_b32_e32 v4, v16, v15, vcc
	s_and_b64 vcc, s[22:23], s[24:25]
	v_cndmask_b32_e32 v4, v4, v60, vcc
	s_or_b64 vcc, s[22:23], s[20:21]
	v_cndmask_b32_e32 v15, v16, v4, vcc
	s_branch .LBB6_783
.LBB6_792:                              ;   in Loop: Header=BB6_49 Depth=1
	s_or_b64 exec, exec, s[72:73]
	v_cmp_ne_u32_e64 s[20:21], 0, v45
	s_and_saveexec_b64 s[22:23], s[10:11]
	s_cbranch_execz .LBB6_811
.LBB6_793:                              ;   in Loop: Header=BB6_49 Depth=1
	s_and_saveexec_b64 s[24:25], s[46:47]
	s_xor_b64 s[24:25], exec, s[24:25]
	s_cbranch_execz .LBB6_808
; %bb.794:                              ;   in Loop: Header=BB6_49 Depth=1
	s_and_saveexec_b64 s[26:27], s[12:13]
	s_cbranch_execz .LBB6_807
; %bb.795:                              ;   in Loop: Header=BB6_49 Depth=1
	s_mov_b64 s[74:75], exec
	v_mbcnt_lo_u32_b32 v0, s74, 0
	v_mbcnt_hi_u32_b32 v0, s75, v0
	v_cmp_eq_u32_e32 vcc, 0, v0
	s_waitcnt vmcnt(0) lgkmcnt(0)
	buffer_wbinvl1_vol
	s_and_saveexec_b64 s[72:73], vcc
	s_cbranch_execz .LBB6_797
; %bb.796:                              ;   in Loop: Header=BB6_49 Depth=1
	s_bcnt1_i32_b64 s74, s[74:75]
	v_mov_b32_e32 v0, s74
	v_mov_b32_e32 v1, v57
	ds_add_u64 v0, v[0:1]
	s_trap 2
.LBB6_797:                              ;   in Loop: Header=BB6_49 Depth=1
	s_or_b64 exec, exec, s[72:73]
	s_trap 2
	ds_read_b64 v[0:1], v0
	s_waitcnt lgkmcnt(0)
	v_add_co_u32_e32 v22, vcc, v22, v44
	v_addc_co_u32_e32 v23, vcc, 0, v23, vcc
	v_cmp_lt_u64_e32 vcc, v[0:1], v[22:23]
	s_and_saveexec_b64 s[72:73], vcc
	s_cbranch_execz .LBB6_806
; %bb.798:                              ;   in Loop: Header=BB6_49 Depth=1
	s_mov_b32 s94, 0
	s_mov_b64 s[74:75], 0
                                        ; implicit-def: $sgpr76_sgpr77
                                        ; implicit-def: $sgpr78_sgpr79
	s_branch .LBB6_800
.LBB6_799:                              ;   in Loop: Header=BB6_800 Depth=2
	s_or_b64 exec, exec, s[90:91]
	s_and_b64 s[88:89], exec, s[92:93]
	s_or_b64 s[74:75], s[88:89], s[74:75]
	s_andn2_b64 s[76:77], s[76:77], exec
	s_and_b64 s[88:89], s[78:79], exec
	s_or_b64 s[76:77], s[76:77], s[88:89]
	s_andn2_b64 exec, exec, s[74:75]
	s_cbranch_execz .LBB6_804
.LBB6_800:                              ;   Parent Loop BB6_49 Depth=1
                                        ; =>  This Inner Loop Header: Depth=2
	s_add_i32 s94, s94, 1
	s_cmpk_lg_i32 s94, 0x2710
	s_cselect_b64 s[88:89], -1, 0
	s_and_b64 vcc, exec, s[88:89]
	s_cbranch_vccz .LBB6_802
; %bb.801:                              ;   in Loop: Header=BB6_800 Depth=2
	s_mov_b64 s[92:93], -1
	s_or_b64 s[78:79], s[78:79], exec
	s_and_saveexec_b64 s[90:91], s[88:89]
	s_cbranch_execz .LBB6_799
	s_branch .LBB6_803
.LBB6_802:                              ;   in Loop: Header=BB6_800 Depth=2
	s_trap 2
	ds_read_b64 v[0:1], v0
	s_andn2_b64 s[88:89], s[88:89], exec
	s_mov_b32 s94, 0
	s_waitcnt lgkmcnt(0)
	flat_load_dword v0, v[0:1] glc
	s_waitcnt vmcnt(0) lgkmcnt(0)
	buffer_wbinvl1_vol
	v_cmp_eq_u32_e32 vcc, 0, v0
	s_and_b64 s[90:91], vcc, exec
	s_or_b64 s[88:89], s[88:89], s[90:91]
	s_mov_b64 s[92:93], -1
	s_or_b64 s[78:79], s[78:79], exec
	s_and_saveexec_b64 s[90:91], s[88:89]
	s_cbranch_execz .LBB6_799
.LBB6_803:                              ;   in Loop: Header=BB6_800 Depth=2
	s_sleep 1
	s_trap 2
	ds_read_b64 v[0:1], v0
	s_waitcnt lgkmcnt(0)
	s_andn2_b64 s[78:79], s[78:79], exec
	v_cmp_ge_u64_e32 vcc, v[0:1], v[22:23]
	s_orn2_b64 s[92:93], vcc, exec
	s_branch .LBB6_799
.LBB6_804:                              ;   in Loop: Header=BB6_49 Depth=1
	s_or_b64 exec, exec, s[74:75]
	s_and_saveexec_b64 s[74:75], s[76:77]
	s_xor_b64 s[74:75], exec, s[74:75]
	s_cbranch_execz .LBB6_806
; %bb.805:                              ;   in Loop: Header=BB6_49 Depth=1
	ds_write_b32 v0, v20
	s_trap 2
.LBB6_806:                              ;   in Loop: Header=BB6_49 Depth=1
	s_or_b64 exec, exec, s[72:73]
	;;#ASMSTART
	s_wakeup
	;;#ASMEND
.LBB6_807:                              ;   in Loop: Header=BB6_49 Depth=1
	s_or_b64 exec, exec, s[26:27]
.LBB6_808:                              ;   in Loop: Header=BB6_49 Depth=1
	s_andn2_saveexec_b64 s[24:25], s[24:25]
	s_cbranch_execz .LBB6_810
; %bb.809:                              ;   in Loop: Header=BB6_49 Depth=1
	s_waitcnt vmcnt(0) lgkmcnt(0)
	buffer_wbinvl1_vol
	s_barrier
.LBB6_810:                              ;   in Loop: Header=BB6_49 Depth=1
	s_or_b64 exec, exec, s[24:25]
.LBB6_811:                              ;   in Loop: Header=BB6_49 Depth=1
	s_or_b64 exec, exec, s[22:23]
	v_and_b32_e32 v0, 16, v30
	v_cmp_ne_u32_e32 vcc, 0, v0
	s_and_b64 s[22:23], vcc, s[20:21]
	s_and_saveexec_b64 s[20:21], s[22:23]
	s_cbranch_execz .LBB6_813
; %bb.812:                              ;   in Loop: Header=BB6_49 Depth=1
	s_waitcnt vmcnt(0) lgkmcnt(0)
	buffer_wbinvl1_vol
.LBB6_813:                              ;   in Loop: Header=BB6_49 Depth=1
	s_or_b64 exec, exec, s[20:21]
	v_cmp_ne_u32_e32 vcc, 0, v0
	s_xor_b64 s[20:21], s[18:19], -1
	s_and_b64 s[22:23], vcc, s[20:21]
	s_and_saveexec_b64 s[20:21], s[22:23]
	s_cbranch_execz .LBB6_815
; %bb.814:                              ;   in Loop: Header=BB6_49 Depth=1
	buffer_load_dword v0, off, s[0:3], s33 offset:64 ; 4-byte Folded Reload
	buffer_load_dword v1, off, s[0:3], s33 offset:68 ; 4-byte Folded Reload
	s_waitcnt vmcnt(0)
	flat_store_dword v[0:1], v20
.LBB6_815:                              ;   in Loop: Header=BB6_49 Depth=1
	s_or_b64 exec, exec, s[20:21]
	v_and_b32_e32 v0, 48, v30
	v_cmp_ne_u32_e32 vcc, 0, v0
	s_and_saveexec_b64 s[20:21], vcc
	s_cbranch_execz .LBB6_817
; %bb.816:                              ;   in Loop: Header=BB6_49 Depth=1
	v_add_co_u32_e32 v52, vcc, 1, v52
	v_addc_co_u32_e32 v53, vcc, 0, v53, vcc
	flat_store_dwordx2 v[40:41], v[52:53]
.LBB6_817:                              ;   in Loop: Header=BB6_49 Depth=1
	s_or_b64 exec, exec, s[20:21]
	v_mov_b32_e32 v0, v55
.LBB6_818:                              ;   in Loop: Header=BB6_49 Depth=1
	s_or_b64 exec, exec, s[62:63]
	s_and_saveexec_b64 s[22:23], s[60:61]
	s_cbranch_execz .LBB6_48
; %bb.819:                              ;   in Loop: Header=BB6_49 Depth=1
	v_sub_u32_e32 v0, v54, v0
	v_and_b32_e32 v1, 12, v30
	v_min_i32_e32 v0, v55, v0
	v_cmp_ne_u32_e32 vcc, 0, v1
	s_and_saveexec_b64 s[24:25], vcc
	s_cbranch_execz .LBB6_845
; %bb.820:                              ;   in Loop: Header=BB6_49 Depth=1
	v_and_b32_e32 v14, 8, v30
	v_add_co_u32_e32 v4, vcc, v46, v14
	v_addc_co_u32_e32 v5, vcc, 0, v47, vcc
	s_waitcnt lgkmcnt(0)
	v_add_co_u32_e32 v10, vcc, 1, v52
	v_addc_co_u32_e32 v11, vcc, 0, v53, vcc
	v_cmp_lt_u64_e32 vcc, v[4:5], v[10:11]
	s_and_saveexec_b64 s[26:27], vcc
	s_cbranch_execz .LBB6_832
; %bb.821:                              ;   in Loop: Header=BB6_49 Depth=1
	v_and_b32_e32 v1, 64, v30
	s_mov_b32 s94, 0
	v_cmp_eq_u32_e32 vcc, 0, v1
	s_mov_b64 s[60:61], 0
                                        ; implicit-def: $sgpr62_sgpr63
                                        ; implicit-def: $sgpr72_sgpr73
                                        ; implicit-def: $sgpr74_sgpr75
	s_branch .LBB6_825
.LBB6_822:                              ;   in Loop: Header=BB6_825 Depth=2
	s_waitcnt vmcnt(0) lgkmcnt(0)
	v_add_co_u32_e64 v4, s[20:21], v46, v14
	v_addc_co_u32_e64 v5, s[20:21], 0, v47, s[20:21]
	v_cmp_ge_u64_e64 s[20:21], v[4:5], v[10:11]
	s_or_b64 s[88:89], s[88:89], exec
	s_orn2_b64 s[78:79], s[20:21], exec
.LBB6_823:                              ;   in Loop: Header=BB6_825 Depth=2
	s_or_b64 exec, exec, s[92:93]
	s_andn2_b64 s[20:21], s[74:75], exec
	s_and_b64 s[74:75], s[88:89], exec
	s_or_b64 s[74:75], s[20:21], s[74:75]
	s_andn2_b64 s[20:21], s[72:73], exec
	s_and_b64 s[72:73], s[78:79], exec
	s_or_b64 s[72:73], s[20:21], s[72:73]
.LBB6_824:                              ;   in Loop: Header=BB6_825 Depth=2
	s_or_b64 exec, exec, s[76:77]
	s_and_b64 s[20:21], exec, s[72:73]
	s_or_b64 s[60:61], s[20:21], s[60:61]
	s_andn2_b64 s[20:21], s[62:63], exec
	s_and_b64 s[62:63], s[74:75], exec
	s_or_b64 s[62:63], s[20:21], s[62:63]
	s_andn2_b64 exec, exec, s[60:61]
	s_cbranch_execz .LBB6_829
.LBB6_825:                              ;   Parent Loop BB6_49 Depth=1
                                        ; =>  This Inner Loop Header: Depth=2
	s_sleep 1
	s_waitcnt vmcnt(0) lgkmcnt(0)
	flat_load_dwordx2 v[46:47], v[40:41] glc
	s_or_b64 s[74:75], s[74:75], exec
	s_or_b64 s[72:73], s[72:73], exec
                                        ; implicit-def: $vgpr1
	s_and_saveexec_b64 s[76:77], vcc
	s_cbranch_execz .LBB6_824
; %bb.826:                              ;   in Loop: Header=BB6_825 Depth=2
	s_cmpk_lt_i32 s94, 0x270f
	s_cselect_b64 s[90:91], -1, 0
	s_cmpk_gt_i32 s94, 0x270e
	s_mov_b64 s[78:79], -1
	s_cbranch_scc0 .LBB6_828
; %bb.827:                              ;   in Loop: Header=BB6_825 Depth=2
	s_trap 2
	ds_read_b64 v[4:5], v0
	s_andn2_b64 s[90:91], s[90:91], exec
	s_mov_b32 s94, 0
	s_mov_b64 s[88:89], 0
	s_waitcnt vmcnt(0) lgkmcnt(0)
	flat_load_dword v1, v[4:5] glc
	s_waitcnt vmcnt(0) lgkmcnt(0)
	buffer_wbinvl1_vol
	v_cmp_eq_u32_e64 s[20:21], 0, v1
	s_and_b64 s[20:21], s[20:21], exec
	s_or_b64 s[90:91], s[90:91], s[20:21]
	s_and_saveexec_b64 s[92:93], s[90:91]
	s_cbranch_execz .LBB6_823
	s_branch .LBB6_822
.LBB6_828:                              ;   in Loop: Header=BB6_825 Depth=2
	s_add_i32 s94, s94, 1
	s_mov_b64 s[88:89], -1
                                        ; implicit-def: $vgpr1
	s_and_saveexec_b64 s[92:93], s[90:91]
	s_cbranch_execz .LBB6_823
	s_branch .LBB6_822
.LBB6_829:                              ;   in Loop: Header=BB6_49 Depth=1
	s_or_b64 exec, exec, s[60:61]
	s_xor_b64 s[20:21], s[62:63], -1
	s_and_saveexec_b64 s[60:61], s[20:21]
	s_xor_b64 s[20:21], exec, s[60:61]
	s_cbranch_execz .LBB6_831
; %bb.830:                              ;   in Loop: Header=BB6_49 Depth=1
	v_or_b32_e32 v30, 64, v30
	s_waitcnt lgkmcnt(0)
	ds_write_b32 v0, v1
	s_trap 2
.LBB6_831:                              ;   in Loop: Header=BB6_49 Depth=1
	s_or_b64 exec, exec, s[20:21]
.LBB6_832:                              ;   in Loop: Header=BB6_49 Depth=1
	s_or_b64 exec, exec, s[26:27]
	v_and_b32_e32 v1, 0x108, v30
	v_cmp_ne_u32_e32 vcc, s34, v1
	v_and_b32_e32 v15, 7, v52
	;;#ASMSTART
	s_wakeup
	;;#ASMEND
	s_and_saveexec_b64 s[20:21], vcc
	s_xor_b64 s[20:21], exec, s[20:21]
                                        ; implicit-def: $vgpr1
; %bb.833:                              ;   in Loop: Header=BB6_49 Depth=1
	v_mov_b32_e32 v1, v57
; %bb.834:                              ;   in Loop: Header=BB6_49 Depth=1
	s_andn2_saveexec_b64 s[20:21], s[20:21]
	s_cbranch_execz .LBB6_836
; %bb.835:                              ;   in Loop: Header=BB6_49 Depth=1
	v_mad_u64_u32 v[4:5], s[26:27], v15, 24, v[50:51]
	v_ashrrev_i32_e32 v1, 31, v0
	v_lshlrev_b64 v[6:7], 1, v[0:1]
	v_mov_b32_e32 v1, v57
	flat_store_dwordx2 v[4:5], v[6:7] offset:8
.LBB6_836:                              ;   in Loop: Header=BB6_49 Depth=1
	s_or_b64 exec, exec, s[20:21]
	v_and_b32_e32 v4, 0x100, v30
	v_cmp_ne_u32_e32 vcc, 0, v4
	s_mov_b64 s[20:21], -1
                                        ; implicit-def: $vgpr8_vgpr9
	s_and_saveexec_b64 s[26:27], vcc
	s_cbranch_execz .LBB6_840
; %bb.837:                              ;   in Loop: Header=BB6_49 Depth=1
	v_mad_u64_u32 v[12:13], s[20:21], v15, 24, v[50:51]
                                        ; implicit-def: $vgpr8_vgpr9
	v_mov_b32_e32 v4, v13
	v_mad_u64_u32 v[4:5], s[20:21], v1, 24, v[4:5]
	v_mov_b32_e32 v13, v4
	flat_load_dword v4, v[12:13]
	s_waitcnt vmcnt(0) lgkmcnt(0)
	v_cmp_ne_u32_e32 vcc, 1, v4
	v_cmp_eq_u32_e64 s[20:21], 1, v4
	s_and_saveexec_b64 s[60:61], s[20:21]
	s_cbranch_execz .LBB6_839
; %bb.838:                              ;   in Loop: Header=BB6_49 Depth=1
	flat_load_dword v4, v[12:13] offset:4 glc
	s_waitcnt vmcnt(0) lgkmcnt(0)
	v_ashrrev_i32_e32 v5, 31, v4
	v_lshrrev_b64 v[8:9], 1, v[4:5]
.LBB6_839:                              ;   in Loop: Header=BB6_49 Depth=1
	s_or_b64 exec, exec, s[60:61]
	s_orn2_b64 s[20:21], vcc, exec
.LBB6_840:                              ;   in Loop: Header=BB6_49 Depth=1
	s_or_b64 exec, exec, s[26:27]
	s_and_saveexec_b64 s[26:27], s[20:21]
	s_cbranch_execz .LBB6_842
; %bb.841:                              ;   in Loop: Header=BB6_49 Depth=1
	s_waitcnt vmcnt(0)
	v_mul_lo_u32 v1, v1, v42
	v_mul_lo_u32 v4, v15, v35
	v_mad_u64_u32 v[8:9], s[20:21], v15, v42, 0
	v_add3_u32 v9, v9, v4, v1
.LBB6_842:                              ;   in Loop: Header=BB6_49 Depth=1
	s_or_b64 exec, exec, s[26:27]
	v_lshlrev_b64 v[4:5], 1, v[8:9]
	v_cmp_eq_u32_e32 vcc, 0, v14
	v_cndmask_b32_e32 v1, v38, v39, vcc
	s_waitcnt vmcnt(0)
	v_add_co_u32_e32 v4, vcc, v18, v4
	v_addc_co_u32_e32 v5, vcc, v19, v5, vcc
	v_add_u32_e32 v1, v0, v1
	ds_write_b64 v1, v[4:5] offset:584
	v_and_b32_e32 v1, 0x2000, v30
	v_cmp_ne_u32_e32 vcc, 0, v1
	s_and_saveexec_b64 s[20:21], vcc
	s_cbranch_execz .LBB6_844
; %bb.843:                              ;   in Loop: Header=BB6_49 Depth=1
	ds_read_b64 v[4:5], v0 offset:872
	s_waitcnt lgkmcnt(0)
	v_add_co_u32_e32 v4, vcc, 1, v4
	v_addc_co_u32_e32 v5, vcc, 0, v5, vcc
	ds_write_b64 v0, v[4:5] offset:872
.LBB6_844:                              ;   in Loop: Header=BB6_49 Depth=1
	s_or_b64 exec, exec, s[20:21]
	v_mov_b32_e32 v53, v11
	v_mov_b32_e32 v52, v10
.LBB6_845:                              ;   in Loop: Header=BB6_49 Depth=1
	s_or_b64 exec, exec, s[24:25]
	s_and_saveexec_b64 s[20:21], s[10:11]
	s_cbranch_execz .LBB6_864
; %bb.846:                              ;   in Loop: Header=BB6_49 Depth=1
	s_and_saveexec_b64 s[24:25], s[46:47]
	s_xor_b64 s[24:25], exec, s[24:25]
	s_cbranch_execz .LBB6_861
; %bb.847:                              ;   in Loop: Header=BB6_49 Depth=1
	s_and_saveexec_b64 s[26:27], s[12:13]
	s_cbranch_execz .LBB6_860
; %bb.848:                              ;   in Loop: Header=BB6_49 Depth=1
	s_mov_b64 s[62:63], exec
	v_mbcnt_lo_u32_b32 v1, s62, 0
	v_mbcnt_hi_u32_b32 v1, s63, v1
	v_cmp_eq_u32_e32 vcc, 0, v1
	s_waitcnt vmcnt(0) lgkmcnt(0)
	buffer_wbinvl1_vol
	s_and_saveexec_b64 s[60:61], vcc
	s_cbranch_execz .LBB6_850
; %bb.849:                              ;   in Loop: Header=BB6_49 Depth=1
	s_bcnt1_i32_b64 s62, s[62:63]
	v_mov_b32_e32 v4, s62
	v_mov_b32_e32 v5, v57
	ds_add_u64 v0, v[4:5]
	s_trap 2
.LBB6_850:                              ;   in Loop: Header=BB6_49 Depth=1
	s_or_b64 exec, exec, s[60:61]
	s_trap 2
	ds_read_b64 v[4:5], v0
	s_waitcnt lgkmcnt(0)
	v_add_co_u32_e32 v22, vcc, v22, v44
	v_addc_co_u32_e32 v23, vcc, 0, v23, vcc
	v_cmp_lt_u64_e32 vcc, v[4:5], v[22:23]
	s_and_saveexec_b64 s[60:61], vcc
	s_cbranch_execz .LBB6_859
; %bb.851:                              ;   in Loop: Header=BB6_49 Depth=1
	s_mov_b32 s90, 0
	s_mov_b64 s[62:63], 0
                                        ; implicit-def: $sgpr72_sgpr73
                                        ; implicit-def: $sgpr74_sgpr75
	s_branch .LBB6_853
.LBB6_852:                              ;   in Loop: Header=BB6_853 Depth=2
	s_or_b64 exec, exec, s[78:79]
	s_and_b64 s[76:77], exec, s[88:89]
	s_or_b64 s[62:63], s[76:77], s[62:63]
	s_andn2_b64 s[72:73], s[72:73], exec
	s_and_b64 s[76:77], s[74:75], exec
	s_or_b64 s[72:73], s[72:73], s[76:77]
	s_andn2_b64 exec, exec, s[62:63]
	s_cbranch_execz .LBB6_857
.LBB6_853:                              ;   Parent Loop BB6_49 Depth=1
                                        ; =>  This Inner Loop Header: Depth=2
	s_add_i32 s90, s90, 1
	s_cmpk_lg_i32 s90, 0x2710
	s_cselect_b64 s[76:77], -1, 0
	s_and_b64 vcc, exec, s[76:77]
	s_cbranch_vccz .LBB6_855
; %bb.854:                              ;   in Loop: Header=BB6_853 Depth=2
	s_mov_b64 s[88:89], -1
	s_or_b64 s[74:75], s[74:75], exec
	s_and_saveexec_b64 s[78:79], s[76:77]
	s_cbranch_execz .LBB6_852
	s_branch .LBB6_856
.LBB6_855:                              ;   in Loop: Header=BB6_853 Depth=2
	s_trap 2
	ds_read_b64 v[4:5], v0
	s_andn2_b64 s[76:77], s[76:77], exec
	s_mov_b32 s90, 0
	s_waitcnt lgkmcnt(0)
	flat_load_dword v1, v[4:5] glc
	s_waitcnt vmcnt(0) lgkmcnt(0)
	buffer_wbinvl1_vol
	v_cmp_eq_u32_e32 vcc, 0, v1
	s_and_b64 s[78:79], vcc, exec
	s_or_b64 s[76:77], s[76:77], s[78:79]
	s_mov_b64 s[88:89], -1
	s_or_b64 s[74:75], s[74:75], exec
	s_and_saveexec_b64 s[78:79], s[76:77]
	s_cbranch_execz .LBB6_852
.LBB6_856:                              ;   in Loop: Header=BB6_853 Depth=2
	s_sleep 1
	s_trap 2
	ds_read_b64 v[4:5], v0
	s_waitcnt lgkmcnt(0)
	s_andn2_b64 s[74:75], s[74:75], exec
	v_cmp_ge_u64_e32 vcc, v[4:5], v[22:23]
	s_orn2_b64 s[88:89], vcc, exec
	s_branch .LBB6_852
.LBB6_857:                              ;   in Loop: Header=BB6_49 Depth=1
	s_or_b64 exec, exec, s[62:63]
	s_and_saveexec_b64 s[62:63], s[72:73]
	s_xor_b64 s[62:63], exec, s[62:63]
	s_cbranch_execz .LBB6_859
; %bb.858:                              ;   in Loop: Header=BB6_49 Depth=1
	ds_write_b32 v0, v20
	s_trap 2
.LBB6_859:                              ;   in Loop: Header=BB6_49 Depth=1
	s_or_b64 exec, exec, s[60:61]
	;;#ASMSTART
	s_wakeup
	;;#ASMEND
.LBB6_860:                              ;   in Loop: Header=BB6_49 Depth=1
	s_or_b64 exec, exec, s[26:27]
.LBB6_861:                              ;   in Loop: Header=BB6_49 Depth=1
	s_andn2_saveexec_b64 s[24:25], s[24:25]
	s_cbranch_execz .LBB6_863
; %bb.862:                              ;   in Loop: Header=BB6_49 Depth=1
	s_waitcnt vmcnt(0) lgkmcnt(0)
	buffer_wbinvl1_vol
	s_barrier
.LBB6_863:                              ;   in Loop: Header=BB6_49 Depth=1
	s_or_b64 exec, exec, s[24:25]
.LBB6_864:                              ;   in Loop: Header=BB6_49 Depth=1
	s_or_b64 exec, exec, s[20:21]
	s_trap 2
	ds_read_b32 v1, v0
	v_cmp_lt_i32_e32 vcc, 0, v0
	v_and_b32_e32 v0, 16, v30
	s_waitcnt lgkmcnt(0)
	v_readfirstlane_b32 s20, v1
	s_cmp_eq_u32 s20, 0
	s_cselect_b64 s[20:21], -1, 0
	s_and_b64 s[20:21], vcc, s[20:21]
	v_cmp_ne_u32_e32 vcc, 0, v0
	s_and_b64 s[24:25], vcc, s[20:21]
	s_and_saveexec_b64 s[20:21], s[24:25]
	s_cbranch_execz .LBB6_866
; %bb.865:                              ;   in Loop: Header=BB6_49 Depth=1
	s_waitcnt vmcnt(0)
	buffer_wbinvl1_vol
.LBB6_866:                              ;   in Loop: Header=BB6_49 Depth=1
	s_or_b64 exec, exec, s[20:21]
	v_cmp_ne_u32_e32 vcc, 0, v0
	s_xor_b64 s[20:21], s[18:19], -1
	s_and_b64 s[24:25], vcc, s[20:21]
	s_and_saveexec_b64 s[20:21], s[24:25]
	s_cbranch_execz .LBB6_868
; %bb.867:                              ;   in Loop: Header=BB6_49 Depth=1
	buffer_load_dword v0, off, s[0:3], s33 offset:64 ; 4-byte Folded Reload
	buffer_load_dword v1, off, s[0:3], s33 offset:68 ; 4-byte Folded Reload
	s_waitcnt vmcnt(0)
	flat_store_dword v[0:1], v20
.LBB6_868:                              ;   in Loop: Header=BB6_49 Depth=1
	s_or_b64 exec, exec, s[20:21]
	v_and_b32_e32 v0, 48, v30
	v_cmp_ne_u32_e32 vcc, 0, v0
	s_and_saveexec_b64 s[20:21], vcc
	s_cbranch_execz .LBB6_47
; %bb.869:                              ;   in Loop: Header=BB6_49 Depth=1
	v_add_co_u32_e32 v52, vcc, 1, v52
	v_addc_co_u32_e32 v53, vcc, 0, v53, vcc
	flat_store_dwordx2 v[40:41], v[52:53]
	s_branch .LBB6_47
.LBB6_870:
	s_or_b64 exec, exec, s[56:57]
	buffer_load_dword v54, off, s[0:3], s33 offset:148 ; 4-byte Folded Reload
	buffer_load_dword v55, off, s[0:3], s33 offset:152 ; 4-byte Folded Reload
	;; [unrolled: 1-line block ×5, first 2 shown]
.LBB6_871:
	s_or_b64 exec, exec, s[44:45]
                                        ; implicit-def: $vgpr48_vgpr49
                                        ; implicit-def: $vgpr36_vgpr37
                                        ; implicit-def: $vgpr42
                                        ; implicit-def: $vgpr46_vgpr47
                                        ; implicit-def: $vgpr0_vgpr1
                                        ; kill: killed $vgpr0_vgpr1
                                        ; implicit-def: $vgpr40_vgpr41
                                        ; implicit-def: $vgpr43
                                        ; implicit-def: $vgpr21
                                        ; implicit-def: $vgpr33
.LBB6_872:
	s_andn2_saveexec_b64 s[26:27], s[42:43]
	s_cbranch_execz .LBB6_1688
; %bb.873:
	s_waitcnt vmcnt(0)
	v_mov_b32_e32 v22, 0
	v_cmp_ne_u64_e32 vcc, 0, v[36:37]
	v_mov_b32_e32 v23, 0
	s_and_saveexec_b64 s[42:43], vcc
	s_cbranch_execz .LBB6_1687
; %bb.874:
	v_and_b32_e32 v0, 63, v31
	v_cmp_eq_u32_e64 s[12:13], 0, v0
	v_lshrrev_b32_e32 v0, 6, v43
	buffer_store_dword v54, off, s[0:3], s33 offset:148 ; 4-byte Folded Spill
	s_nop 0
	buffer_store_dword v55, off, s[0:3], s33 offset:152 ; 4-byte Folded Spill
	s_trap 2
	v_and_b32_e32 v1, 63, v43
	buffer_store_dword v0, off, s[0:3], s33 offset:208 ; 4-byte Folded Spill
	v_lshlrev_b32_e32 v0, 12, v0
	v_lshrrev_b32_e32 v55, 6, v62
	v_lshl_or_b32 v0, v1, 4, v0
	buffer_store_dword v0, off, s[0:3], s33 offset:232 ; 4-byte Folded Spill
	v_lshlrev_b32_e32 v0, 12, v55
	buffer_store_dword v0, off, s[0:3], s33 offset:60 ; 4-byte Folded Spill
	v_lshlrev_b32_e32 v0, 1, v62
	v_cmp_le_u32_e64 s[14:15], v1, v21
	v_cmp_eq_u32_e64 s[16:17], 0, v1
	buffer_store_dword v1, off, s[0:3], s33 offset:228 ; 4-byte Folded Spill
	v_and_b32_e32 v18, 0x7f80, v0
	v_mov_b32_e32 v0, v36
	v_mov_b32_e32 v1, v37
	buffer_store_dword v31, off, s[0:3], s33 offset:196 ; 4-byte Folded Spill
	buffer_store_dword v0, off, s[0:3], s33 offset:112 ; 4-byte Folded Spill
	s_nop 0
	buffer_store_dword v1, off, s[0:3], s33 offset:116 ; 4-byte Folded Spill
	buffer_store_dword v2, off, s[0:3], s33 offset:120 ; 4-byte Folded Spill
	;; [unrolled: 1-line block ×4, first 2 shown]
	s_nop 0
	buffer_store_dword v49, off, s[0:3], s33 offset:132 ; 4-byte Folded Spill
	buffer_store_dword v40, off, s[0:3], s33 offset:156 ; 4-byte Folded Spill
	s_nop 0
	buffer_store_dword v41, off, s[0:3], s33 offset:160 ; 4-byte Folded Spill
	buffer_load_dword v16, off, s[0:3], s33 offset:72 ; 4-byte Folded Reload
	buffer_load_dword v17, off, s[0:3], s33 offset:76 ; 4-byte Folded Reload
	s_lshr_b32 s6, s30, 27
	s_add_i32 s6, s30, s6
	v_cmp_eq_u32_e32 vcc, 64, v62
	v_mov_b32_e32 v58, 0
	v_mov_b32_e32 v22, 0
	s_ashr_i32 s94, s6, 5
	v_cmp_ge_u32_e64 s[6:7], v43, v62
	v_cmp_ne_u32_e64 s[10:11], 64, v62
	v_mov_b32_e32 v38, v56
	v_cmp_ne_u32_sdwa s[44:45], v62, v56 src0_sel:DWORD src1_sel:WORD_0
	v_mov_b32_e32 v32, 0
	v_lshlrev_b32_e32 v35, 10, v55
	v_lshlrev_b32_e32 v57, 11, v55
	s_mov_b64 s[46:47], 0
	v_mov_b32_e32 v59, 0
	v_mov_b32_e32 v23, 0
	s_xor_b64 s[56:57], vcc, -1
	s_movk_i32 s95, 0x7c00
	s_movk_i32 s31, 0x7c01
	s_mov_b32 s34, 0x7060302
	s_mov_b32 s35, 0x5040100
	s_movk_i32 s36, 0xfc00
	v_mov_b32_e32 v56, 0x7fff
	buffer_store_dword v33, off, s[0:3], s33 offset:80 ; 4-byte Folded Spill
	s_nop 0
	buffer_store_dword v34, off, s[0:3], s33 offset:84 ; 4-byte Folded Spill
	buffer_store_dword v35, off, s[0:3], s33 offset:200 ; 4-byte Folded Spill
	;; [unrolled: 1-line block ×7, first 2 shown]
	s_branch .LBB6_877
.LBB6_875:                              ;   in Loop: Header=BB6_877 Depth=1
	s_or_b64 exec, exec, s[18:19]
.LBB6_876:                              ;   in Loop: Header=BB6_877 Depth=1
	s_or_b64 exec, exec, s[20:21]
	v_add_co_u32_e32 v58, vcc, v58, v33
	v_addc_co_u32_e32 v59, vcc, 0, v59, vcc
	v_cmp_ge_u64_e32 vcc, v[58:59], v[36:37]
	s_or_b64 s[46:47], vcc, s[46:47]
	s_andn2_b64 exec, exec, s[46:47]
	s_cbranch_execz .LBB6_1686
.LBB6_877:                              ; =>This Loop Header: Depth=1
                                        ;     Child Loop BB6_886 Depth 2
                                        ;     Child Loop BB6_910 Depth 2
	;; [unrolled: 1-line block ×10, first 2 shown]
	v_sub_co_u32_e32 v0, vcc, v36, v58
	v_subb_co_u32_e32 v1, vcc, v37, v59, vcc
	v_cmp_lt_u64_e32 vcc, v[33:34], v[0:1]
	v_mov_b32_e32 v10, 0
	v_cndmask_b32_e64 v61, v1, 0, vcc
	v_cndmask_b32_e32 v60, v0, v33, vcc
	v_cmp_eq_u64_e32 vcc, 0, v[60:61]
	v_add_u32_e32 v0, 15, v60
	v_and_b32_e32 v0, 0x3ffffff0, v0
	s_or_b64 s[58:59], s[6:7], vcc
	v_max_i32_e32 v54, s94, v0
	s_xor_b64 s[18:19], s[58:59], -1
	s_and_saveexec_b64 s[60:61], s[18:19]
	s_cbranch_execz .LBB6_1640
; %bb.878:                              ;   in Loop: Header=BB6_877 Depth=1
	s_and_saveexec_b64 s[18:19], s[4:5]
	s_cbranch_execz .LBB6_880
; %bb.879:                              ;   in Loop: Header=BB6_877 Depth=1
	s_trap 2
	ds_read2_b64 v[0:3], v0 offset1:1
	v_add_co_u32_e32 v4, vcc, v58, v48
	v_addc_co_u32_e32 v5, vcc, v59, v49, vcc
	v_lshlrev_b64 v[4:5], 1, v[4:5]
	s_waitcnt vmcnt(0) lgkmcnt(0)
	ds_read_b64 v[6:7], v0
	v_add_co_u32_e32 v0, vcc, v0, v4
	v_addc_co_u32_e32 v1, vcc, v1, v5, vcc
	ds_write_b64 v0, v[0:1]
	v_add_co_u32_e32 v0, vcc, v2, v4
	v_addc_co_u32_e32 v1, vcc, v3, v5, vcc
	ds_write_b64 v0, v[0:1]
	s_waitcnt lgkmcnt(2)
	v_add_co_u32_e32 v0, vcc, v6, v4
	v_addc_co_u32_e32 v1, vcc, v7, v5, vcc
	v_cmp_ne_u64_e32 vcc, 0, v[6:7]
	v_cndmask_b32_e32 v1, 0, v1, vcc
	v_cndmask_b32_e32 v0, 0, v0, vcc
	ds_write_b64 v0, v[0:1]
.LBB6_880:                              ;   in Loop: Header=BB6_877 Depth=1
	s_or_b64 exec, exec, s[18:19]
	v_and_b32_e32 v0, 4, v30
	v_cmp_ne_u32_e32 vcc, 0, v0
	s_and_saveexec_b64 s[20:21], vcc
	s_cbranch_execz .LBB6_902
; %bb.881:                              ;   in Loop: Header=BB6_877 Depth=1
	s_waitcnt lgkmcnt(0)
	v_add_co_u32_e32 v0, vcc, 1, v52
	v_addc_co_u32_e32 v1, vcc, 0, v53, vcc
	v_cmp_lt_u64_e32 vcc, v[46:47], v[0:1]
	s_and_saveexec_b64 s[22:23], vcc
	s_cbranch_execz .LBB6_893
; %bb.882:                              ;   in Loop: Header=BB6_877 Depth=1
	v_and_b32_e32 v2, 64, v30
	s_mov_b32 s37, 0
	v_cmp_eq_u32_e32 vcc, 0, v2
	s_mov_b64 s[24:25], 0
                                        ; implicit-def: $sgpr62_sgpr63
                                        ; implicit-def: $sgpr72_sgpr73
                                        ; implicit-def: $sgpr74_sgpr75
	s_branch .LBB6_886
.LBB6_883:                              ;   in Loop: Header=BB6_886 Depth=2
	s_waitcnt vmcnt(0) lgkmcnt(0)
	v_cmp_ge_u64_e64 s[18:19], v[46:47], v[0:1]
	s_or_b64 s[88:89], s[88:89], exec
	s_orn2_b64 s[78:79], s[18:19], exec
.LBB6_884:                              ;   in Loop: Header=BB6_886 Depth=2
	s_or_b64 exec, exec, s[92:93]
	s_andn2_b64 s[18:19], s[74:75], exec
	s_and_b64 s[74:75], s[88:89], exec
	s_or_b64 s[74:75], s[18:19], s[74:75]
	s_andn2_b64 s[18:19], s[72:73], exec
	s_and_b64 s[72:73], s[78:79], exec
	s_or_b64 s[72:73], s[18:19], s[72:73]
.LBB6_885:                              ;   in Loop: Header=BB6_886 Depth=2
	s_or_b64 exec, exec, s[76:77]
	s_and_b64 s[18:19], exec, s[72:73]
	s_or_b64 s[24:25], s[18:19], s[24:25]
	s_andn2_b64 s[18:19], s[62:63], exec
	s_and_b64 s[62:63], s[74:75], exec
	s_or_b64 s[62:63], s[18:19], s[62:63]
	s_andn2_b64 exec, exec, s[24:25]
	s_cbranch_execz .LBB6_890
.LBB6_886:                              ;   Parent Loop BB6_877 Depth=1
                                        ; =>  This Inner Loop Header: Depth=2
	s_sleep 1
	s_waitcnt vmcnt(0) lgkmcnt(0)
	flat_load_dwordx2 v[46:47], v[40:41] glc
	s_or_b64 s[74:75], s[74:75], exec
	s_or_b64 s[72:73], s[72:73], exec
                                        ; implicit-def: $vgpr2
	s_and_saveexec_b64 s[76:77], vcc
	s_cbranch_execz .LBB6_885
; %bb.887:                              ;   in Loop: Header=BB6_886 Depth=2
	s_cmpk_lt_i32 s37, 0x270f
	s_cselect_b64 s[90:91], -1, 0
	s_cmpk_gt_i32 s37, 0x270e
	s_mov_b64 s[78:79], -1
	s_cbranch_scc0 .LBB6_889
; %bb.888:                              ;   in Loop: Header=BB6_886 Depth=2
	s_trap 2
	ds_read_b64 v[2:3], v0
	s_andn2_b64 s[90:91], s[90:91], exec
	s_mov_b32 s37, 0
	s_mov_b64 s[88:89], 0
	s_waitcnt vmcnt(0) lgkmcnt(0)
	flat_load_dword v2, v[2:3] glc
	s_waitcnt vmcnt(0) lgkmcnt(0)
	buffer_wbinvl1_vol
	v_cmp_eq_u32_e64 s[18:19], 0, v2
	s_and_b64 s[18:19], s[18:19], exec
	s_or_b64 s[90:91], s[90:91], s[18:19]
	s_and_saveexec_b64 s[92:93], s[90:91]
	s_cbranch_execz .LBB6_884
	s_branch .LBB6_883
.LBB6_889:                              ;   in Loop: Header=BB6_886 Depth=2
	s_add_i32 s37, s37, 1
	s_mov_b64 s[88:89], -1
                                        ; implicit-def: $vgpr2
	s_and_saveexec_b64 s[92:93], s[90:91]
	s_cbranch_execz .LBB6_884
	s_branch .LBB6_883
.LBB6_890:                              ;   in Loop: Header=BB6_877 Depth=1
	s_or_b64 exec, exec, s[24:25]
	s_xor_b64 s[18:19], s[62:63], -1
	s_and_saveexec_b64 s[24:25], s[18:19]
	s_xor_b64 s[18:19], exec, s[24:25]
	s_cbranch_execz .LBB6_892
; %bb.891:                              ;   in Loop: Header=BB6_877 Depth=1
	v_or_b32_e32 v30, 64, v30
	s_waitcnt lgkmcnt(0)
	ds_write_b32 v0, v2
	s_trap 2
.LBB6_892:                              ;   in Loop: Header=BB6_877 Depth=1
	s_or_b64 exec, exec, s[18:19]
.LBB6_893:                              ;   in Loop: Header=BB6_877 Depth=1
	s_or_b64 exec, exec, s[22:23]
	v_and_b32_e32 v2, 0x100, v30
	v_cmp_ne_u32_e32 vcc, 0, v2
	v_and_b32_e32 v10, 7, v52
	s_mov_b64 s[18:19], -1
	;;#ASMSTART
	s_wakeup
	;;#ASMEND
                                        ; implicit-def: $vgpr2_vgpr3
	s_and_saveexec_b64 s[22:23], vcc
	s_cbranch_execz .LBB6_897
; %bb.894:                              ;   in Loop: Header=BB6_877 Depth=1
	v_mad_u64_u32 v[8:9], s[18:19], v10, 24, v[50:51]
	flat_load_dword v2, v[8:9]
	s_waitcnt vmcnt(0) lgkmcnt(0)
	v_cmp_ne_u32_e32 vcc, 1, v2
	v_cmp_eq_u32_e64 s[18:19], 1, v2
                                        ; implicit-def: $vgpr2_vgpr3
	s_and_saveexec_b64 s[24:25], s[18:19]
	s_cbranch_execz .LBB6_896
; %bb.895:                              ;   in Loop: Header=BB6_877 Depth=1
	flat_load_dword v2, v[8:9] offset:4 glc
	s_waitcnt vmcnt(0) lgkmcnt(0)
	v_ashrrev_i32_e32 v3, 31, v2
	v_lshrrev_b64 v[2:3], 1, v[2:3]
.LBB6_896:                              ;   in Loop: Header=BB6_877 Depth=1
	s_or_b64 exec, exec, s[24:25]
	s_orn2_b64 s[18:19], vcc, exec
.LBB6_897:                              ;   in Loop: Header=BB6_877 Depth=1
	s_or_b64 exec, exec, s[22:23]
	s_and_saveexec_b64 s[22:23], s[18:19]
; %bb.898:                              ;   in Loop: Header=BB6_877 Depth=1
	v_mad_i64_i32 v[2:3], s[18:19], v10, v42, 0
; %bb.899:                              ;   in Loop: Header=BB6_877 Depth=1
	s_or_b64 exec, exec, s[22:23]
	v_lshlrev_b64 v[2:3], 1, v[2:3]
	s_waitcnt vmcnt(0)
	v_add_co_u32_e32 v2, vcc, v16, v2
	v_addc_co_u32_e32 v3, vcc, v17, v3, vcc
	ds_write_b64 v0, v[2:3] offset:728
	v_and_b32_e32 v2, 0x2000, v30
	v_cmp_ne_u32_e32 vcc, 0, v2
	s_and_saveexec_b64 s[18:19], vcc
	s_cbranch_execz .LBB6_901
; %bb.900:                              ;   in Loop: Header=BB6_877 Depth=1
	ds_read_b64 v[2:3], v0 offset:872
	s_waitcnt lgkmcnt(0)
	v_add_co_u32_e32 v2, vcc, 1, v2
	v_addc_co_u32_e32 v3, vcc, 0, v3, vcc
	ds_write_b64 v0, v[2:3] offset:872
.LBB6_901:                              ;   in Loop: Header=BB6_877 Depth=1
	s_or_b64 exec, exec, s[18:19]
	v_mov_b32_e32 v53, v1
	v_mov_b32_e32 v52, v0
.LBB6_902:                              ;   in Loop: Header=BB6_877 Depth=1
	s_or_b64 exec, exec, s[20:21]
	s_and_saveexec_b64 s[18:19], s[10:11]
	s_cbranch_execz .LBB6_921
; %bb.903:                              ;   in Loop: Header=BB6_877 Depth=1
	s_and_saveexec_b64 s[20:21], s[44:45]
	s_xor_b64 s[20:21], exec, s[20:21]
	s_cbranch_execz .LBB6_918
; %bb.904:                              ;   in Loop: Header=BB6_877 Depth=1
	s_and_saveexec_b64 s[22:23], s[12:13]
	s_cbranch_execz .LBB6_917
; %bb.905:                              ;   in Loop: Header=BB6_877 Depth=1
	s_mov_b64 s[62:63], exec
	v_mbcnt_lo_u32_b32 v0, s62, 0
	v_mbcnt_hi_u32_b32 v0, s63, v0
	v_cmp_eq_u32_e32 vcc, 0, v0
	s_waitcnt vmcnt(0) lgkmcnt(0)
	buffer_wbinvl1_vol
	s_and_saveexec_b64 s[24:25], vcc
	s_cbranch_execz .LBB6_907
; %bb.906:                              ;   in Loop: Header=BB6_877 Depth=1
	s_bcnt1_i32_b64 s62, s[62:63]
	v_mov_b32_e32 v31, s62
	ds_add_u64 v0, v[31:32]
	s_trap 2
.LBB6_907:                              ;   in Loop: Header=BB6_877 Depth=1
	s_or_b64 exec, exec, s[24:25]
	s_trap 2
	ds_read_b64 v[0:1], v0
	s_waitcnt lgkmcnt(0)
	v_add_co_u32_e32 v22, vcc, v22, v55
	v_addc_co_u32_e32 v23, vcc, 0, v23, vcc
	v_cmp_lt_u64_e32 vcc, v[0:1], v[22:23]
	s_and_saveexec_b64 s[24:25], vcc
	s_cbranch_execz .LBB6_916
; %bb.908:                              ;   in Loop: Header=BB6_877 Depth=1
	s_mov_b32 s90, 0
	s_mov_b64 s[62:63], 0
                                        ; implicit-def: $sgpr72_sgpr73
                                        ; implicit-def: $sgpr74_sgpr75
	s_branch .LBB6_910
.LBB6_909:                              ;   in Loop: Header=BB6_910 Depth=2
	s_or_b64 exec, exec, s[78:79]
	s_and_b64 s[76:77], exec, s[88:89]
	s_or_b64 s[62:63], s[76:77], s[62:63]
	s_andn2_b64 s[72:73], s[72:73], exec
	s_and_b64 s[76:77], s[74:75], exec
	s_or_b64 s[72:73], s[72:73], s[76:77]
	s_andn2_b64 exec, exec, s[62:63]
	s_cbranch_execz .LBB6_914
.LBB6_910:                              ;   Parent Loop BB6_877 Depth=1
                                        ; =>  This Inner Loop Header: Depth=2
	s_add_i32 s90, s90, 1
	s_cmpk_lg_i32 s90, 0x2710
	s_cselect_b64 s[76:77], -1, 0
	s_and_b64 vcc, exec, s[76:77]
	s_cbranch_vccz .LBB6_912
; %bb.911:                              ;   in Loop: Header=BB6_910 Depth=2
	s_mov_b64 s[88:89], -1
	s_or_b64 s[74:75], s[74:75], exec
	s_and_saveexec_b64 s[78:79], s[76:77]
	s_cbranch_execz .LBB6_909
	s_branch .LBB6_913
.LBB6_912:                              ;   in Loop: Header=BB6_910 Depth=2
	s_trap 2
	ds_read_b64 v[0:1], v0
	s_andn2_b64 s[76:77], s[76:77], exec
	s_mov_b32 s90, 0
	s_waitcnt lgkmcnt(0)
	flat_load_dword v0, v[0:1] glc
	s_waitcnt vmcnt(0) lgkmcnt(0)
	buffer_wbinvl1_vol
	v_cmp_eq_u32_e32 vcc, 0, v0
	s_and_b64 s[78:79], vcc, exec
	s_or_b64 s[76:77], s[76:77], s[78:79]
	s_mov_b64 s[88:89], -1
	s_or_b64 s[74:75], s[74:75], exec
	s_and_saveexec_b64 s[78:79], s[76:77]
	s_cbranch_execz .LBB6_909
.LBB6_913:                              ;   in Loop: Header=BB6_910 Depth=2
	s_sleep 1
	s_trap 2
	ds_read_b64 v[0:1], v0
	s_waitcnt lgkmcnt(0)
	s_andn2_b64 s[74:75], s[74:75], exec
	v_cmp_ge_u64_e32 vcc, v[0:1], v[22:23]
	s_orn2_b64 s[88:89], vcc, exec
	s_branch .LBB6_909
.LBB6_914:                              ;   in Loop: Header=BB6_877 Depth=1
	s_or_b64 exec, exec, s[62:63]
	s_and_saveexec_b64 s[62:63], s[72:73]
	s_xor_b64 s[62:63], exec, s[62:63]
	s_cbranch_execz .LBB6_916
; %bb.915:                              ;   in Loop: Header=BB6_877 Depth=1
	v_mov_b32_e32 v0, 1
	ds_write_b32 v0, v0
	s_trap 2
.LBB6_916:                              ;   in Loop: Header=BB6_877 Depth=1
	s_or_b64 exec, exec, s[24:25]
	;;#ASMSTART
	s_wakeup
	;;#ASMEND
.LBB6_917:                              ;   in Loop: Header=BB6_877 Depth=1
	s_or_b64 exec, exec, s[22:23]
.LBB6_918:                              ;   in Loop: Header=BB6_877 Depth=1
	s_andn2_saveexec_b64 s[20:21], s[20:21]
	s_cbranch_execz .LBB6_920
; %bb.919:                              ;   in Loop: Header=BB6_877 Depth=1
	s_waitcnt vmcnt(0) lgkmcnt(0)
	buffer_wbinvl1_vol
	s_barrier
.LBB6_920:                              ;   in Loop: Header=BB6_877 Depth=1
	s_or_b64 exec, exec, s[20:21]
.LBB6_921:                              ;   in Loop: Header=BB6_877 Depth=1
	s_or_b64 exec, exec, s[18:19]
	s_trap 2
	ds_read_b32 v0, v0
	v_and_b32_e32 v1, 0x4000, v30
	v_cmp_ne_u32_e32 vcc, 0, v1
	s_and_b64 s[20:21], s[56:57], vcc
	s_and_saveexec_b64 s[18:19], s[20:21]
	s_cbranch_execz .LBB6_940
; %bb.922:                              ;   in Loop: Header=BB6_877 Depth=1
	s_and_saveexec_b64 s[20:21], s[44:45]
	s_xor_b64 s[20:21], exec, s[20:21]
	s_cbranch_execz .LBB6_937
; %bb.923:                              ;   in Loop: Header=BB6_877 Depth=1
	s_and_saveexec_b64 s[22:23], s[12:13]
	s_cbranch_execz .LBB6_936
; %bb.924:                              ;   in Loop: Header=BB6_877 Depth=1
	s_mov_b64 s[62:63], exec
	v_mbcnt_lo_u32_b32 v1, s62, 0
	v_mbcnt_hi_u32_b32 v1, s63, v1
	v_cmp_eq_u32_e32 vcc, 0, v1
	s_waitcnt vmcnt(0) lgkmcnt(0)
	buffer_wbinvl1_vol
	s_and_saveexec_b64 s[24:25], vcc
	s_cbranch_execz .LBB6_926
; %bb.925:                              ;   in Loop: Header=BB6_877 Depth=1
	s_bcnt1_i32_b64 s62, s[62:63]
	v_mov_b32_e32 v31, s62
	ds_add_u64 v0, v[31:32]
	s_trap 2
.LBB6_926:                              ;   in Loop: Header=BB6_877 Depth=1
	s_or_b64 exec, exec, s[24:25]
	s_trap 2
	ds_read_b64 v[1:2], v0
	s_waitcnt lgkmcnt(0)
	v_add_co_u32_e32 v22, vcc, v22, v55
	v_addc_co_u32_e32 v23, vcc, 0, v23, vcc
	v_cmp_lt_u64_e32 vcc, v[1:2], v[22:23]
	s_and_saveexec_b64 s[24:25], vcc
	s_cbranch_execz .LBB6_935
; %bb.927:                              ;   in Loop: Header=BB6_877 Depth=1
	s_mov_b32 s90, 0
	s_mov_b64 s[62:63], 0
                                        ; implicit-def: $sgpr72_sgpr73
                                        ; implicit-def: $sgpr74_sgpr75
	s_branch .LBB6_929
.LBB6_928:                              ;   in Loop: Header=BB6_929 Depth=2
	s_or_b64 exec, exec, s[78:79]
	s_and_b64 s[76:77], exec, s[88:89]
	s_or_b64 s[62:63], s[76:77], s[62:63]
	s_andn2_b64 s[72:73], s[72:73], exec
	s_and_b64 s[76:77], s[74:75], exec
	s_or_b64 s[72:73], s[72:73], s[76:77]
	s_andn2_b64 exec, exec, s[62:63]
	s_cbranch_execz .LBB6_933
.LBB6_929:                              ;   Parent Loop BB6_877 Depth=1
                                        ; =>  This Inner Loop Header: Depth=2
	s_add_i32 s90, s90, 1
	s_cmpk_lg_i32 s90, 0x2710
	s_cselect_b64 s[76:77], -1, 0
	s_and_b64 vcc, exec, s[76:77]
	s_cbranch_vccz .LBB6_931
; %bb.930:                              ;   in Loop: Header=BB6_929 Depth=2
	s_mov_b64 s[88:89], -1
	s_or_b64 s[74:75], s[74:75], exec
	s_and_saveexec_b64 s[78:79], s[76:77]
	s_cbranch_execz .LBB6_928
	s_branch .LBB6_932
.LBB6_931:                              ;   in Loop: Header=BB6_929 Depth=2
	s_trap 2
	ds_read_b64 v[1:2], v0
	s_andn2_b64 s[76:77], s[76:77], exec
	s_mov_b32 s90, 0
	s_waitcnt lgkmcnt(0)
	flat_load_dword v1, v[1:2] glc
	s_waitcnt vmcnt(0) lgkmcnt(0)
	buffer_wbinvl1_vol
	v_cmp_eq_u32_e32 vcc, 0, v1
	s_and_b64 s[78:79], vcc, exec
	s_or_b64 s[76:77], s[76:77], s[78:79]
	s_mov_b64 s[88:89], -1
	s_or_b64 s[74:75], s[74:75], exec
	s_and_saveexec_b64 s[78:79], s[76:77]
	s_cbranch_execz .LBB6_928
.LBB6_932:                              ;   in Loop: Header=BB6_929 Depth=2
	s_sleep 1
	s_trap 2
	ds_read_b64 v[1:2], v0
	s_waitcnt lgkmcnt(0)
	s_andn2_b64 s[74:75], s[74:75], exec
	v_cmp_ge_u64_e32 vcc, v[1:2], v[22:23]
	s_orn2_b64 s[88:89], vcc, exec
	s_branch .LBB6_928
.LBB6_933:                              ;   in Loop: Header=BB6_877 Depth=1
	s_or_b64 exec, exec, s[62:63]
	s_and_saveexec_b64 s[62:63], s[72:73]
	s_xor_b64 s[62:63], exec, s[62:63]
	s_cbranch_execz .LBB6_935
; %bb.934:                              ;   in Loop: Header=BB6_877 Depth=1
	v_mov_b32_e32 v1, 1
	ds_write_b32 v0, v1
	s_trap 2
.LBB6_935:                              ;   in Loop: Header=BB6_877 Depth=1
	s_or_b64 exec, exec, s[24:25]
	;;#ASMSTART
	s_wakeup
	;;#ASMEND
.LBB6_936:                              ;   in Loop: Header=BB6_877 Depth=1
	s_or_b64 exec, exec, s[22:23]
.LBB6_937:                              ;   in Loop: Header=BB6_877 Depth=1
	s_andn2_saveexec_b64 s[20:21], s[20:21]
	s_cbranch_execz .LBB6_939
; %bb.938:                              ;   in Loop: Header=BB6_877 Depth=1
	s_waitcnt vmcnt(0) lgkmcnt(0)
	buffer_wbinvl1_vol
	s_barrier
.LBB6_939:                              ;   in Loop: Header=BB6_877 Depth=1
	s_or_b64 exec, exec, s[20:21]
.LBB6_940:                              ;   in Loop: Header=BB6_877 Depth=1
	s_or_b64 exec, exec, s[18:19]
	s_trap 2
	s_waitcnt vmcnt(0) lgkmcnt(0)
	ds_read_b64 v[6:7], v0
	v_min_u32_e32 v54, v54, v60
	s_waitcnt lgkmcnt(0)
	v_cmp_eq_u64_e32 vcc, 0, v[6:7]
	s_cbranch_vccnz .LBB6_948
; %bb.941:                              ;   in Loop: Header=BB6_877 Depth=1
	s_trap 2
	ds_read_b64 v[10:11], v0
	s_waitcnt lgkmcnt(0)
	v_cmp_eq_u64_e32 vcc, 0, v[10:11]
	s_cbranch_vccnz .LBB6_948
; %bb.942:                              ;   in Loop: Header=BB6_877 Depth=1
	s_trap 2
	ds_read_b64 v[1:2], v0
	s_mov_b64 s[20:21], -1
	s_waitcnt lgkmcnt(0)
	v_readfirstlane_b32 s92, v1
	s_and_saveexec_b64 s[18:19], s[14:15]
	s_cbranch_execz .LBB6_944
; %bb.943:                              ;   in Loop: Header=BB6_877 Depth=1
	ds_read_b32 v1, v0 offset:720
	s_waitcnt lgkmcnt(0)
	v_and_b32_e32 v1, 15, v1
	v_cmp_eq_u32_e32 vcc, 0, v1
	s_orn2_b64 s[20:21], vcc, exec
.LBB6_944:                              ;   in Loop: Header=BB6_877 Depth=1
	s_or_b64 exec, exec, s[18:19]
	s_and_saveexec_b64 s[18:19], s[16:17]
	s_cbranch_execz .LBB6_946
; %bb.945:                              ;   in Loop: Header=BB6_877 Depth=1
	ds_read_b32 v1, v0 offset:784
	s_waitcnt lgkmcnt(0)
	v_and_b32_e32 v1, 15, v1
	v_cmp_eq_u32_e32 vcc, 0, v1
	s_and_b64 s[22:23], s[20:21], vcc
	s_andn2_b64 s[20:21], s[20:21], exec
	s_and_b64 s[22:23], s[22:23], exec
	s_or_b64 s[20:21], s[20:21], s[22:23]
.LBB6_946:                              ;   in Loop: Header=BB6_877 Depth=1
	s_or_b64 exec, exec, s[18:19]
	v_cmp_eq_u32_e32 vcc, 0, v0
	s_xor_b64 s[20:21], s[20:21], -1
	v_cndmask_b32_e32 v9, 0, v54, vcc
	v_cndmask_b32_e64 v0, 0, 1, s[20:21]
	v_lshlrev_b32_e32 v31, 1, v9
	s_mov_b64 s[18:19], -1
	v_cmp_ne_u32_e32 vcc, 0, v0
	v_mov_b32_e32 v4, 0
	s_cbranch_vccz .LBB6_949
; %bb.947:                              ;   in Loop: Header=BB6_877 Depth=1
	v_mov_b32_e32 v2, v43
	s_and_saveexec_b64 s[62:63], s[18:19]
	s_cbranch_execnz .LBB6_1408
	s_branch .LBB6_1616
.LBB6_948:                              ;   in Loop: Header=BB6_877 Depth=1
	s_mov_b64 s[18:19], 0
	s_and_saveexec_b64 s[20:21], s[10:11]
	s_cbranch_execnz .LBB6_1617
	s_branch .LBB6_1635
.LBB6_949:                              ;   in Loop: Header=BB6_877 Depth=1
	buffer_load_dword v0, off, s[0:3], s33 offset:208 ; 4-byte Folded Reload
	v_lshrrev_b32_e32 v1, 11, v9
	s_waitcnt vmcnt(0)
	v_sub_u32_e32 v0, v1, v0
	v_cmp_lt_i32_e32 vcc, 0, v0
	s_and_saveexec_b64 s[62:63], vcc
	s_cbranch_execz .LBB6_1337
; %bb.950:                              ;   in Loop: Header=BB6_877 Depth=1
	buffer_store_dword v1, off, s[0:3], s33 offset:220 ; 4-byte Folded Spill
	buffer_store_dword v31, off, s[0:3], s33 offset:180 ; 4-byte Folded Spill
	;; [unrolled: 1-line block ×4, first 2 shown]
	s_nop 0
	buffer_store_dword v32, off, s[0:3], s33 offset:172 ; 4-byte Folded Spill
	buffer_store_dword v22, off, s[0:3], s33 offset:88 ; 4-byte Folded Spill
	s_nop 0
	buffer_store_dword v23, off, s[0:3], s33 offset:92 ; 4-byte Folded Spill
	buffer_store_dword v50, off, s[0:3], s33 offset:96 ; 4-byte Folded Spill
	;; [unrolled: 3-line block ×3, first 2 shown]
	buffer_store_dword v53, off, s[0:3], s33 offset:108 ; 4-byte Folded Spill
	s_trap 2
	buffer_load_dword v1, off, s[0:3], s33 offset:232 ; 4-byte Folded Reload
	ds_read_b64 v[2:3], v0
	s_bitcmp1_b32 s92, 0
	s_mov_b64 s[72:73], 0
	s_cselect_b64 s[74:75], -1, 0
	s_waitcnt vmcnt(0)
	v_add_co_u32_e32 v61, vcc, v6, v1
	buffer_store_dword v6, off, s[0:3], s33 offset:64 ; 4-byte Folded Spill
	s_nop 0
	buffer_store_dword v7, off, s[0:3], s33 offset:68 ; 4-byte Folded Spill
	v_addc_co_u32_e32 v62, vcc, 0, v7, vcc
	s_waitcnt lgkmcnt(0)
	v_add_co_u32_e32 v2, vcc, v2, v1
	v_addc_co_u32_e32 v3, vcc, 0, v3, vcc
	v_add_co_u32_e32 v52, vcc, v10, v1
	buffer_store_dword v10, off, s[0:3], s33 offset:212 ; 4-byte Folded Spill
	s_nop 0
	buffer_store_dword v11, off, s[0:3], s33 offset:216 ; 4-byte Folded Spill
	v_addc_co_u32_e32 v53, vcc, 0, v11, vcc
	s_branch .LBB6_954
.LBB6_951:                              ;   in Loop: Header=BB6_954 Depth=2
	s_or_b64 exec, exec, s[22:23]
	v_mov_b32_e32 v36, v31
.LBB6_952:                              ;   in Loop: Header=BB6_954 Depth=2
	s_or_b64 exec, exec, s[76:77]
	v_mov_b32_e32 v13, v36
.LBB6_953:                              ;   in Loop: Header=BB6_954 Depth=2
	v_lshlrev_b32_e32 v6, 16, v18
	v_and_b32_e32 v7, 0xffff, v35
	v_lshlrev_b32_e32 v4, 16, v19
	v_and_b32_e32 v5, 0xffff, v22
	v_or_b32_e32 v6, v6, v7
	v_or3_b32 v5, v4, v5, 0
	v_or3_b32 v4, 0, 0, v6
	v_lshlrev_b32_e32 v6, 16, v20
	v_and_b32_e32 v7, 0xffff, v23
	v_or_b32_e32 v6, v6, v7
	v_lshlrev_b32_e32 v7, 16, v21
	v_and_b32_e32 v8, 0xffff, v24
	v_or3_b32 v7, v7, v8, 0
	v_lshlrev_b32_e32 v8, 16, v27
	v_and_b32_e32 v9, 0xffff, v32
	v_lshlrev_b32_e32 v17, 16, v26
	v_and_b32_e32 v18, 0xffff, v51
	v_or_b32_e32 v17, v17, v18
	v_or3_b32 v18, v8, v9, 0
	v_lshlrev_b32_e32 v8, 16, v28
	v_and_b32_e32 v9, 0xffff, v33
	v_or_b32_e32 v8, v8, v9
	v_lshlrev_b32_e32 v9, 16, v29
	v_and_b32_e32 v19, 0xffff, v34
	v_lshlrev_b32_e32 v21, 16, v55
	v_and_b32_e32 v1, 0xffff, v1
	v_or3_b32 v20, v9, v19, 0
	v_or3_b32 v19, 0, 0, v8
	v_lshlrev_b32_e32 v8, 16, v37
	v_and_b32_e32 v9, 0xffff, v48
	v_or_b32_e32 v1, v21, v1
	v_or3_b32 v22, v8, v9, 0
	v_or3_b32 v21, 0, 0, v1
	v_lshlrev_b32_e32 v1, 16, v38
	v_and_b32_e32 v8, 0xffff, v49
	v_or_b32_e32 v1, v1, v8
	v_lshlrev_b32_e32 v8, 16, v39
	v_and_b32_e32 v9, 0xffff, v50
	v_or3_b32 v24, v8, v9, 0
	v_lshlrev_b32_e32 v9, 16, v10
	v_and_b32_e32 v10, 0xffff, v25
	v_or3_b32 v23, 0, 0, v1
	v_lshlrev_b32_e32 v1, 16, v11
	v_and_b32_e32 v8, 0xffff, v14
	v_or_b32_e32 v10, v9, v10
	v_or3_b32 v9, v1, v8, 0
	v_or3_b32 v8, 0, 0, v10
	v_lshlrev_b32_e32 v1, 16, v12
	v_and_b32_e32 v10, 0xffff, v15
	v_or_b32_e32 v1, v1, v10
	v_lshlrev_b32_e32 v10, 16, v13
	v_and_b32_e32 v11, 0xffff, v16
	v_or3_b32 v6, 0, 0, v6
	v_or3_b32 v17, 0, 0, v17
	;; [unrolled: 1-line block ×4, first 2 shown]
	global_store_dwordx4 v[52:53], v[21:24], off glc slc
	global_store_dwordx4 v[52:53], v[17:20], off offset:1024 glc slc
	global_store_dwordx4 v[52:53], v[4:7], off offset:2048 glc slc
	;; [unrolled: 1-line block ×3, first 2 shown]
	buffer_load_dword v1, off, s[0:3], s33 offset:60 ; 4-byte Folded Reload
	v_mov_b32_e32 v55, v41
	v_sub_u32_e32 v0, v0, v55
	s_waitcnt vmcnt(0)
	v_add_co_u32_e32 v61, vcc, v61, v1
	v_addc_co_u32_e32 v62, vcc, 0, v62, vcc
	v_add_co_u32_e32 v2, vcc, v2, v1
	v_addc_co_u32_e32 v3, vcc, 0, v3, vcc
	v_cmp_gt_i32_e32 vcc, 1, v0
	s_or_b64 s[72:73], vcc, s[72:73]
	v_add_co_u32_e32 v52, vcc, v52, v1
	v_addc_co_u32_e32 v53, vcc, 0, v53, vcc
	s_andn2_b64 exec, exec, s[72:73]
	s_cbranch_execz .LBB6_1336
.LBB6_954:                              ;   Parent Loop BB6_877 Depth=1
                                        ; =>  This Inner Loop Header: Depth=2
	global_load_dwordx4 v[42:45], v[61:62], off glc slc
	global_load_dwordx4 v[26:29], v[61:62], off offset:1024 glc slc
	global_load_dwordx4 v[18:21], v[61:62], off offset:2048 glc slc
	;; [unrolled: 1-line block ×3, first 2 shown]
	global_load_dwordx4 v[48:51], v[2:3], off glc slc
	global_load_dwordx4 v[32:35], v[2:3], off offset:1024 glc slc
	global_load_dwordx4 v[22:25], v[2:3], off offset:2048 glc slc
	;; [unrolled: 1-line block ×3, first 2 shown]
	s_mov_b64 s[22:23], -1
	s_and_b64 vcc, exec, s[74:75]
	s_waitcnt vmcnt(7)
	v_and_b32_e32 v1, 0x7fff, v42
	v_cmp_lt_u16_e64 s[18:19], s95, v1
                                        ; implicit-def: $vgpr1
	s_waitcnt vmcnt(3)
	v_and_b32_e32 v31, 0x7fff, v48
	v_cmp_gt_u16_e64 s[20:21], s31, v31
	s_and_b64 s[24:25], s[18:19], s[20:21]
	s_xor_b64 s[24:25], s[24:25], -1
	s_cbranch_vccz .LBB6_960
; %bb.955:                              ;   in Loop: Header=BB6_954 Depth=2
	v_mov_b32_e32 v1, v48
	s_and_saveexec_b64 s[76:77], s[24:25]
	s_cbranch_execz .LBB6_959
; %bb.956:                              ;   in Loop: Header=BB6_954 Depth=2
	s_or_b64 s[22:23], s[18:19], s[20:21]
	v_mov_b32_e32 v1, v42
	s_and_saveexec_b64 s[78:79], s[22:23]
; %bb.957:                              ;   in Loop: Header=BB6_954 Depth=2
	v_cmp_lt_u16_e32 vcc, s95, v31
	v_cmp_gt_f16_e64 s[22:23], v42, v48
	v_cndmask_b32_e64 v1, v48, v42, s[22:23]
	s_and_b64 vcc, s[18:19], vcc
	v_cndmask_b32_e32 v1, v1, v56, vcc
; %bb.958:                              ;   in Loop: Header=BB6_954 Depth=2
	s_or_b64 exec, exec, s[78:79]
.LBB6_959:                              ;   in Loop: Header=BB6_954 Depth=2
	s_or_b64 exec, exec, s[76:77]
	s_mov_b64 s[22:23], 0
.LBB6_960:                              ;   in Loop: Header=BB6_954 Depth=2
	s_andn2_b64 vcc, exec, s[22:23]
	s_cbranch_vccnz .LBB6_966
; %bb.961:                              ;   in Loop: Header=BB6_954 Depth=2
	v_mov_b32_e32 v1, v48
	s_and_saveexec_b64 s[22:23], s[24:25]
	s_cbranch_execz .LBB6_965
; %bb.962:                              ;   in Loop: Header=BB6_954 Depth=2
	s_or_b64 s[20:21], s[18:19], s[20:21]
	v_mov_b32_e32 v1, v42
	s_and_saveexec_b64 s[24:25], s[20:21]
; %bb.963:                              ;   in Loop: Header=BB6_954 Depth=2
	v_cmp_lt_u16_e32 vcc, s95, v31
	v_cmp_gt_f16_e64 s[20:21], v42, v48
	v_cndmask_b32_e64 v1, v42, v48, s[20:21]
	s_and_b64 vcc, s[18:19], vcc
	v_cndmask_b32_e32 v1, v1, v56, vcc
; %bb.964:                              ;   in Loop: Header=BB6_954 Depth=2
	s_or_b64 exec, exec, s[24:25]
.LBB6_965:                              ;   in Loop: Header=BB6_954 Depth=2
	s_or_b64 exec, exec, s[22:23]
.LBB6_966:                              ;   in Loop: Header=BB6_954 Depth=2
	v_perm_b32 v31, v48, v42, s34
	v_lshrrev_b32_e32 v36, 16, v48
	v_lshrrev_b32_e32 v48, 16, v42
	v_and_b32_e32 v4, 0x7fff, v48
	v_and_b32_e32 v37, 0x7fff, v36
	v_cmp_lt_u16_e64 s[18:19], s95, v4
	v_cmp_gt_u16_e64 s[20:21], s31, v37
	s_and_b64 s[24:25], s[18:19], s[20:21]
	v_mov_b32_e32 v41, v55
	s_mov_b64 s[22:23], -1
	s_xor_b64 s[24:25], s[24:25], -1
	s_and_b64 vcc, exec, s[74:75]
                                        ; implicit-def: $vgpr55
	s_cbranch_vccz .LBB6_972
; %bb.967:                              ;   in Loop: Header=BB6_954 Depth=2
	v_mov_b32_e32 v55, v36
	s_and_saveexec_b64 s[76:77], s[24:25]
	s_cbranch_execz .LBB6_971
; %bb.968:                              ;   in Loop: Header=BB6_954 Depth=2
	s_or_b64 s[22:23], s[18:19], s[20:21]
	v_mov_b32_e32 v55, v48
	s_and_saveexec_b64 s[78:79], s[22:23]
; %bb.969:                              ;   in Loop: Header=BB6_954 Depth=2
	v_lshrrev_b32_e32 v4, 16, v31
	v_cmp_lt_u16_e32 vcc, s95, v37
	v_cmp_gt_f16_e64 s[22:23], v31, v4
	v_cndmask_b32_e64 v4, v4, v31, s[22:23]
	s_and_b64 vcc, s[18:19], vcc
	v_cndmask_b32_e32 v55, v4, v56, vcc
; %bb.970:                              ;   in Loop: Header=BB6_954 Depth=2
	s_or_b64 exec, exec, s[78:79]
.LBB6_971:                              ;   in Loop: Header=BB6_954 Depth=2
	s_or_b64 exec, exec, s[76:77]
	s_mov_b64 s[22:23], 0
.LBB6_972:                              ;   in Loop: Header=BB6_954 Depth=2
	s_andn2_b64 vcc, exec, s[22:23]
	s_cbranch_vccnz .LBB6_978
; %bb.973:                              ;   in Loop: Header=BB6_954 Depth=2
	s_and_saveexec_b64 s[22:23], s[24:25]
	s_cbranch_execz .LBB6_977
; %bb.974:                              ;   in Loop: Header=BB6_954 Depth=2
	s_or_b64 s[20:21], s[18:19], s[20:21]
	s_and_saveexec_b64 s[24:25], s[20:21]
; %bb.975:                              ;   in Loop: Header=BB6_954 Depth=2
	v_lshrrev_b32_e32 v4, 16, v31
	v_cmp_lt_u16_e32 vcc, s95, v37
	v_cmp_gt_f16_e64 s[20:21], v31, v4
	v_cndmask_b32_e64 v4, v31, v4, s[20:21]
	s_and_b64 vcc, s[18:19], vcc
	v_cndmask_b32_e32 v48, v4, v56, vcc
; %bb.976:                              ;   in Loop: Header=BB6_954 Depth=2
	s_or_b64 exec, exec, s[24:25]
	v_mov_b32_e32 v36, v48
.LBB6_977:                              ;   in Loop: Header=BB6_954 Depth=2
	s_or_b64 exec, exec, s[22:23]
	v_mov_b32_e32 v55, v36
.LBB6_978:                              ;   in Loop: Header=BB6_954 Depth=2
	v_and_b32_e32 v4, 0x7fff, v43
	v_and_b32_e32 v36, 0x7fff, v49
	v_cmp_lt_u16_e64 s[18:19], s95, v4
	v_cmp_gt_u16_e64 s[20:21], s31, v36
	s_and_b64 s[24:25], s[18:19], s[20:21]
	v_perm_b32 v31, v49, v43, s35
	s_mov_b64 s[22:23], -1
	s_xor_b64 s[24:25], s[24:25], -1
	s_and_b64 vcc, exec, s[74:75]
                                        ; implicit-def: $vgpr48
	s_cbranch_vccz .LBB6_984
; %bb.979:                              ;   in Loop: Header=BB6_954 Depth=2
	v_mov_b32_e32 v48, v49
	s_and_saveexec_b64 s[76:77], s[24:25]
	s_cbranch_execz .LBB6_983
; %bb.980:                              ;   in Loop: Header=BB6_954 Depth=2
	s_or_b64 s[22:23], s[18:19], s[20:21]
	v_mov_b32_e32 v48, v43
	s_and_saveexec_b64 s[78:79], s[22:23]
; %bb.981:                              ;   in Loop: Header=BB6_954 Depth=2
	v_lshrrev_b32_e32 v4, 16, v31
	v_cmp_lt_u16_e32 vcc, s95, v36
	v_cmp_gt_f16_e64 s[22:23], v31, v4
	v_cndmask_b32_e64 v4, v4, v31, s[22:23]
	s_and_b64 vcc, s[18:19], vcc
	v_cndmask_b32_e32 v48, v4, v56, vcc
; %bb.982:                              ;   in Loop: Header=BB6_954 Depth=2
	s_or_b64 exec, exec, s[78:79]
.LBB6_983:                              ;   in Loop: Header=BB6_954 Depth=2
	s_or_b64 exec, exec, s[76:77]
	s_mov_b64 s[22:23], 0
.LBB6_984:                              ;   in Loop: Header=BB6_954 Depth=2
	s_andn2_b64 vcc, exec, s[22:23]
	s_cbranch_vccnz .LBB6_990
; %bb.985:                              ;   in Loop: Header=BB6_954 Depth=2
	v_mov_b32_e32 v48, v49
	s_and_saveexec_b64 s[22:23], s[24:25]
	s_cbranch_execz .LBB6_989
; %bb.986:                              ;   in Loop: Header=BB6_954 Depth=2
	s_or_b64 s[20:21], s[18:19], s[20:21]
	v_mov_b32_e32 v48, v43
	s_and_saveexec_b64 s[24:25], s[20:21]
; %bb.987:                              ;   in Loop: Header=BB6_954 Depth=2
	v_lshrrev_b32_e32 v4, 16, v31
	v_cmp_lt_u16_e32 vcc, s95, v36
	v_cmp_gt_f16_e64 s[20:21], v31, v4
	v_cndmask_b32_e64 v4, v31, v4, s[20:21]
	s_and_b64 vcc, s[18:19], vcc
	v_cndmask_b32_e32 v48, v4, v56, vcc
; %bb.988:                              ;   in Loop: Header=BB6_954 Depth=2
	s_or_b64 exec, exec, s[24:25]
.LBB6_989:                              ;   in Loop: Header=BB6_954 Depth=2
	s_or_b64 exec, exec, s[22:23]
.LBB6_990:                              ;   in Loop: Header=BB6_954 Depth=2
	v_lshrrev_b32_e32 v31, 16, v43
	v_lshrrev_b32_e32 v36, 16, v49
	v_and_b32_e32 v4, 0x7fff, v31
	v_and_b32_e32 v38, 0x7fff, v36
	v_cmp_lt_u16_e64 s[18:19], s95, v4
	v_cmp_gt_u16_e64 s[20:21], s31, v38
	s_and_b64 s[24:25], s[18:19], s[20:21]
	v_perm_b32 v49, v49, v43, s34
	s_mov_b64 s[22:23], -1
	s_xor_b64 s[24:25], s[24:25], -1
	s_and_b64 vcc, exec, s[74:75]
                                        ; implicit-def: $vgpr37
	s_cbranch_vccz .LBB6_996
; %bb.991:                              ;   in Loop: Header=BB6_954 Depth=2
	v_mov_b32_e32 v37, v36
	s_and_saveexec_b64 s[76:77], s[24:25]
	s_cbranch_execz .LBB6_995
; %bb.992:                              ;   in Loop: Header=BB6_954 Depth=2
	s_or_b64 s[22:23], s[18:19], s[20:21]
	v_mov_b32_e32 v37, v31
	s_and_saveexec_b64 s[78:79], s[22:23]
; %bb.993:                              ;   in Loop: Header=BB6_954 Depth=2
	v_lshrrev_b32_e32 v4, 16, v49
	v_cmp_lt_u16_e32 vcc, s95, v38
	v_cmp_gt_f16_e64 s[22:23], v49, v4
	v_cndmask_b32_e64 v4, v4, v49, s[22:23]
	s_and_b64 vcc, s[18:19], vcc
	v_cndmask_b32_e32 v37, v4, v56, vcc
; %bb.994:                              ;   in Loop: Header=BB6_954 Depth=2
	s_or_b64 exec, exec, s[78:79]
.LBB6_995:                              ;   in Loop: Header=BB6_954 Depth=2
	s_or_b64 exec, exec, s[76:77]
	s_mov_b64 s[22:23], 0
.LBB6_996:                              ;   in Loop: Header=BB6_954 Depth=2
	s_andn2_b64 vcc, exec, s[22:23]
	s_cbranch_vccnz .LBB6_1002
; %bb.997:                              ;   in Loop: Header=BB6_954 Depth=2
	s_and_saveexec_b64 s[22:23], s[24:25]
	s_cbranch_execz .LBB6_1001
; %bb.998:                              ;   in Loop: Header=BB6_954 Depth=2
	s_or_b64 s[20:21], s[18:19], s[20:21]
	s_and_saveexec_b64 s[24:25], s[20:21]
; %bb.999:                              ;   in Loop: Header=BB6_954 Depth=2
	v_lshrrev_b32_e32 v4, 16, v49
	v_cmp_lt_u16_e32 vcc, s95, v38
	v_cmp_gt_f16_e64 s[20:21], v49, v4
	v_cndmask_b32_e64 v4, v49, v4, s[20:21]
	s_and_b64 vcc, s[18:19], vcc
	v_cndmask_b32_e32 v31, v4, v56, vcc
; %bb.1000:                             ;   in Loop: Header=BB6_954 Depth=2
	s_or_b64 exec, exec, s[24:25]
	v_mov_b32_e32 v36, v31
.LBB6_1001:                             ;   in Loop: Header=BB6_954 Depth=2
	s_or_b64 exec, exec, s[22:23]
	v_mov_b32_e32 v37, v36
.LBB6_1002:                             ;   in Loop: Header=BB6_954 Depth=2
	v_and_b32_e32 v4, 0x7fff, v44
	v_and_b32_e32 v31, 0x7fff, v50
	v_cmp_lt_u16_e64 s[18:19], s95, v4
	v_cmp_gt_u16_e64 s[20:21], s31, v31
	s_and_b64 s[24:25], s[18:19], s[20:21]
	s_mov_b64 s[22:23], -1
	s_xor_b64 s[24:25], s[24:25], -1
	s_and_b64 vcc, exec, s[74:75]
                                        ; implicit-def: $vgpr49
	s_cbranch_vccz .LBB6_1008
; %bb.1003:                             ;   in Loop: Header=BB6_954 Depth=2
	v_mov_b32_e32 v49, v50
	s_and_saveexec_b64 s[76:77], s[24:25]
	s_cbranch_execz .LBB6_1007
; %bb.1004:                             ;   in Loop: Header=BB6_954 Depth=2
	s_or_b64 s[22:23], s[18:19], s[20:21]
	v_mov_b32_e32 v49, v44
	s_and_saveexec_b64 s[78:79], s[22:23]
; %bb.1005:                             ;   in Loop: Header=BB6_954 Depth=2
	v_cmp_lt_u16_e32 vcc, s95, v31
	v_cmp_gt_f16_e64 s[22:23], v44, v50
	v_cndmask_b32_e64 v4, v50, v44, s[22:23]
	s_and_b64 vcc, s[18:19], vcc
	v_cndmask_b32_e32 v49, v4, v56, vcc
; %bb.1006:                             ;   in Loop: Header=BB6_954 Depth=2
	s_or_b64 exec, exec, s[78:79]
.LBB6_1007:                             ;   in Loop: Header=BB6_954 Depth=2
	s_or_b64 exec, exec, s[76:77]
	s_mov_b64 s[22:23], 0
.LBB6_1008:                             ;   in Loop: Header=BB6_954 Depth=2
	s_andn2_b64 vcc, exec, s[22:23]
	s_cbranch_vccnz .LBB6_1014
; %bb.1009:                             ;   in Loop: Header=BB6_954 Depth=2
	v_mov_b32_e32 v49, v50
	s_and_saveexec_b64 s[22:23], s[24:25]
	s_cbranch_execz .LBB6_1013
; %bb.1010:                             ;   in Loop: Header=BB6_954 Depth=2
	s_or_b64 s[20:21], s[18:19], s[20:21]
	v_mov_b32_e32 v49, v44
	s_and_saveexec_b64 s[24:25], s[20:21]
; %bb.1011:                             ;   in Loop: Header=BB6_954 Depth=2
	v_cmp_lt_u16_e32 vcc, s95, v31
	v_cmp_gt_f16_e64 s[20:21], v44, v50
	v_cndmask_b32_e64 v4, v44, v50, s[20:21]
	s_and_b64 vcc, s[18:19], vcc
	v_cndmask_b32_e32 v49, v4, v56, vcc
; %bb.1012:                             ;   in Loop: Header=BB6_954 Depth=2
	s_or_b64 exec, exec, s[24:25]
.LBB6_1013:                             ;   in Loop: Header=BB6_954 Depth=2
	s_or_b64 exec, exec, s[22:23]
.LBB6_1014:                             ;   in Loop: Header=BB6_954 Depth=2
	v_perm_b32 v31, v50, v44, s34
	v_lshrrev_b32_e32 v36, 16, v50
	v_lshrrev_b32_e32 v50, 16, v44
	v_and_b32_e32 v4, 0x7fff, v50
	v_and_b32_e32 v39, 0x7fff, v36
	v_cmp_lt_u16_e64 s[18:19], s95, v4
	v_cmp_gt_u16_e64 s[20:21], s31, v39
	s_and_b64 s[24:25], s[18:19], s[20:21]
	s_mov_b64 s[22:23], -1
	s_xor_b64 s[24:25], s[24:25], -1
	s_and_b64 vcc, exec, s[74:75]
                                        ; implicit-def: $vgpr38
	s_cbranch_vccz .LBB6_1020
; %bb.1015:                             ;   in Loop: Header=BB6_954 Depth=2
	v_mov_b32_e32 v38, v36
	s_and_saveexec_b64 s[76:77], s[24:25]
	s_cbranch_execz .LBB6_1019
; %bb.1016:                             ;   in Loop: Header=BB6_954 Depth=2
	s_or_b64 s[22:23], s[18:19], s[20:21]
	v_mov_b32_e32 v38, v50
	s_and_saveexec_b64 s[78:79], s[22:23]
; %bb.1017:                             ;   in Loop: Header=BB6_954 Depth=2
	v_lshrrev_b32_e32 v4, 16, v31
	v_cmp_lt_u16_e32 vcc, s95, v39
	v_cmp_gt_f16_e64 s[22:23], v31, v4
	v_cndmask_b32_e64 v4, v4, v31, s[22:23]
	s_and_b64 vcc, s[18:19], vcc
	v_cndmask_b32_e32 v38, v4, v56, vcc
; %bb.1018:                             ;   in Loop: Header=BB6_954 Depth=2
	s_or_b64 exec, exec, s[78:79]
.LBB6_1019:                             ;   in Loop: Header=BB6_954 Depth=2
	s_or_b64 exec, exec, s[76:77]
	s_mov_b64 s[22:23], 0
.LBB6_1020:                             ;   in Loop: Header=BB6_954 Depth=2
	s_andn2_b64 vcc, exec, s[22:23]
	s_cbranch_vccnz .LBB6_1026
; %bb.1021:                             ;   in Loop: Header=BB6_954 Depth=2
	s_and_saveexec_b64 s[22:23], s[24:25]
	s_cbranch_execz .LBB6_1025
; %bb.1022:                             ;   in Loop: Header=BB6_954 Depth=2
	s_or_b64 s[20:21], s[18:19], s[20:21]
	s_and_saveexec_b64 s[24:25], s[20:21]
; %bb.1023:                             ;   in Loop: Header=BB6_954 Depth=2
	v_lshrrev_b32_e32 v4, 16, v31
	v_cmp_lt_u16_e32 vcc, s95, v39
	v_cmp_gt_f16_e64 s[20:21], v31, v4
	v_cndmask_b32_e64 v4, v31, v4, s[20:21]
	s_and_b64 vcc, s[18:19], vcc
	v_cndmask_b32_e32 v50, v4, v56, vcc
; %bb.1024:                             ;   in Loop: Header=BB6_954 Depth=2
	s_or_b64 exec, exec, s[24:25]
	v_mov_b32_e32 v36, v50
.LBB6_1025:                             ;   in Loop: Header=BB6_954 Depth=2
	s_or_b64 exec, exec, s[22:23]
	v_mov_b32_e32 v38, v36
.LBB6_1026:                             ;   in Loop: Header=BB6_954 Depth=2
	v_and_b32_e32 v4, 0x7fff, v45
	v_and_b32_e32 v36, 0x7fff, v51
	v_cmp_lt_u16_e64 s[18:19], s95, v4
	v_cmp_gt_u16_e64 s[20:21], s31, v36
	s_and_b64 s[24:25], s[18:19], s[20:21]
	v_perm_b32 v31, v51, v45, s35
	s_mov_b64 s[22:23], -1
	s_xor_b64 s[24:25], s[24:25], -1
	s_and_b64 vcc, exec, s[74:75]
                                        ; implicit-def: $vgpr50
	s_cbranch_vccz .LBB6_1032
; %bb.1027:                             ;   in Loop: Header=BB6_954 Depth=2
	v_mov_b32_e32 v50, v51
	s_and_saveexec_b64 s[76:77], s[24:25]
	s_cbranch_execz .LBB6_1031
; %bb.1028:                             ;   in Loop: Header=BB6_954 Depth=2
	s_or_b64 s[22:23], s[18:19], s[20:21]
	v_mov_b32_e32 v50, v45
	s_and_saveexec_b64 s[78:79], s[22:23]
; %bb.1029:                             ;   in Loop: Header=BB6_954 Depth=2
	v_lshrrev_b32_e32 v4, 16, v31
	v_cmp_lt_u16_e32 vcc, s95, v36
	v_cmp_gt_f16_e64 s[22:23], v31, v4
	v_cndmask_b32_e64 v4, v4, v31, s[22:23]
	s_and_b64 vcc, s[18:19], vcc
	v_cndmask_b32_e32 v50, v4, v56, vcc
; %bb.1030:                             ;   in Loop: Header=BB6_954 Depth=2
	s_or_b64 exec, exec, s[78:79]
.LBB6_1031:                             ;   in Loop: Header=BB6_954 Depth=2
	s_or_b64 exec, exec, s[76:77]
	s_mov_b64 s[22:23], 0
.LBB6_1032:                             ;   in Loop: Header=BB6_954 Depth=2
	s_andn2_b64 vcc, exec, s[22:23]
	s_cbranch_vccnz .LBB6_1038
; %bb.1033:                             ;   in Loop: Header=BB6_954 Depth=2
	v_mov_b32_e32 v50, v51
	s_and_saveexec_b64 s[22:23], s[24:25]
	s_cbranch_execz .LBB6_1037
; %bb.1034:                             ;   in Loop: Header=BB6_954 Depth=2
	s_or_b64 s[20:21], s[18:19], s[20:21]
	v_mov_b32_e32 v50, v45
	s_and_saveexec_b64 s[24:25], s[20:21]
; %bb.1035:                             ;   in Loop: Header=BB6_954 Depth=2
	v_lshrrev_b32_e32 v4, 16, v31
	v_cmp_lt_u16_e32 vcc, s95, v36
	v_cmp_gt_f16_e64 s[20:21], v31, v4
	v_cndmask_b32_e64 v4, v31, v4, s[20:21]
	s_and_b64 vcc, s[18:19], vcc
	v_cndmask_b32_e32 v50, v4, v56, vcc
; %bb.1036:                             ;   in Loop: Header=BB6_954 Depth=2
	s_or_b64 exec, exec, s[24:25]
.LBB6_1037:                             ;   in Loop: Header=BB6_954 Depth=2
	s_or_b64 exec, exec, s[22:23]
.LBB6_1038:                             ;   in Loop: Header=BB6_954 Depth=2
	v_lshrrev_b32_e32 v31, 16, v45
	v_lshrrev_b32_e32 v36, 16, v51
	v_and_b32_e32 v4, 0x7fff, v31
	v_and_b32_e32 v42, 0x7fff, v36
	v_cmp_lt_u16_e64 s[18:19], s95, v4
	v_cmp_gt_u16_e64 s[20:21], s31, v42
	s_and_b64 s[24:25], s[18:19], s[20:21]
	v_perm_b32 v51, v51, v45, s34
	s_mov_b64 s[22:23], -1
	s_xor_b64 s[24:25], s[24:25], -1
	s_and_b64 vcc, exec, s[74:75]
                                        ; implicit-def: $vgpr39
	s_cbranch_vccz .LBB6_1044
; %bb.1039:                             ;   in Loop: Header=BB6_954 Depth=2
	v_mov_b32_e32 v39, v36
	s_and_saveexec_b64 s[76:77], s[24:25]
	s_cbranch_execz .LBB6_1043
; %bb.1040:                             ;   in Loop: Header=BB6_954 Depth=2
	s_or_b64 s[22:23], s[18:19], s[20:21]
	v_mov_b32_e32 v39, v31
	s_and_saveexec_b64 s[78:79], s[22:23]
; %bb.1041:                             ;   in Loop: Header=BB6_954 Depth=2
	v_lshrrev_b32_e32 v4, 16, v51
	v_cmp_lt_u16_e32 vcc, s95, v42
	v_cmp_gt_f16_e64 s[22:23], v51, v4
	v_cndmask_b32_e64 v4, v4, v51, s[22:23]
	s_and_b64 vcc, s[18:19], vcc
	v_cndmask_b32_e32 v39, v4, v56, vcc
; %bb.1042:                             ;   in Loop: Header=BB6_954 Depth=2
	s_or_b64 exec, exec, s[78:79]
.LBB6_1043:                             ;   in Loop: Header=BB6_954 Depth=2
	s_or_b64 exec, exec, s[76:77]
	s_mov_b64 s[22:23], 0
.LBB6_1044:                             ;   in Loop: Header=BB6_954 Depth=2
	s_andn2_b64 vcc, exec, s[22:23]
	s_cbranch_vccnz .LBB6_1050
; %bb.1045:                             ;   in Loop: Header=BB6_954 Depth=2
	s_and_saveexec_b64 s[22:23], s[24:25]
	s_cbranch_execz .LBB6_1049
; %bb.1046:                             ;   in Loop: Header=BB6_954 Depth=2
	s_or_b64 s[20:21], s[18:19], s[20:21]
	s_and_saveexec_b64 s[24:25], s[20:21]
; %bb.1047:                             ;   in Loop: Header=BB6_954 Depth=2
	v_lshrrev_b32_e32 v4, 16, v51
	v_cmp_lt_u16_e32 vcc, s95, v42
	v_cmp_gt_f16_e64 s[20:21], v51, v4
	v_cndmask_b32_e64 v4, v51, v4, s[20:21]
	s_and_b64 vcc, s[18:19], vcc
	v_cndmask_b32_e32 v31, v4, v56, vcc
; %bb.1048:                             ;   in Loop: Header=BB6_954 Depth=2
	s_or_b64 exec, exec, s[24:25]
	v_mov_b32_e32 v36, v31
.LBB6_1049:                             ;   in Loop: Header=BB6_954 Depth=2
	s_or_b64 exec, exec, s[22:23]
	v_mov_b32_e32 v39, v36
.LBB6_1050:                             ;   in Loop: Header=BB6_954 Depth=2
	v_and_b32_e32 v4, 0x7fff, v26
	s_waitcnt vmcnt(2)
	v_and_b32_e32 v31, 0x7fff, v32
	v_cmp_lt_u16_e64 s[20:21], s95, v4
	v_cmp_gt_u16_e64 s[22:23], s31, v31
	s_and_b64 s[18:19], s[20:21], s[22:23]
	v_cndmask_b32_e64 v4, 0, 1, s[74:75]
	s_mov_b64 s[24:25], -1
	s_xor_b64 s[76:77], s[18:19], -1
	v_cmp_ne_u32_e64 s[18:19], 1, v4
	s_andn2_b64 vcc, exec, s[74:75]
                                        ; implicit-def: $vgpr51
	s_cbranch_vccnz .LBB6_1056
; %bb.1051:                             ;   in Loop: Header=BB6_954 Depth=2
	v_mov_b32_e32 v51, v32
	s_and_saveexec_b64 s[78:79], s[76:77]
	s_cbranch_execz .LBB6_1055
; %bb.1052:                             ;   in Loop: Header=BB6_954 Depth=2
	s_or_b64 s[24:25], s[20:21], s[22:23]
	v_mov_b32_e32 v51, v26
	s_and_saveexec_b64 s[88:89], s[24:25]
; %bb.1053:                             ;   in Loop: Header=BB6_954 Depth=2
	v_cmp_lt_u16_e32 vcc, s95, v31
	v_cmp_gt_f16_e64 s[24:25], v26, v32
	v_cndmask_b32_e64 v4, v32, v26, s[24:25]
	s_and_b64 vcc, s[20:21], vcc
	v_cndmask_b32_e32 v51, v4, v56, vcc
; %bb.1054:                             ;   in Loop: Header=BB6_954 Depth=2
	s_or_b64 exec, exec, s[88:89]
.LBB6_1055:                             ;   in Loop: Header=BB6_954 Depth=2
	s_or_b64 exec, exec, s[78:79]
	s_mov_b64 s[24:25], 0
.LBB6_1056:                             ;   in Loop: Header=BB6_954 Depth=2
	s_andn2_b64 vcc, exec, s[24:25]
	s_cbranch_vccnz .LBB6_1062
; %bb.1057:                             ;   in Loop: Header=BB6_954 Depth=2
	v_mov_b32_e32 v51, v32
	s_and_saveexec_b64 s[24:25], s[76:77]
	s_cbranch_execz .LBB6_1061
; %bb.1058:                             ;   in Loop: Header=BB6_954 Depth=2
	s_or_b64 s[22:23], s[20:21], s[22:23]
	v_mov_b32_e32 v51, v26
	s_and_saveexec_b64 s[76:77], s[22:23]
; %bb.1059:                             ;   in Loop: Header=BB6_954 Depth=2
	v_cmp_lt_u16_e32 vcc, s95, v31
	v_cmp_gt_f16_e64 s[22:23], v26, v32
	v_cndmask_b32_e64 v4, v26, v32, s[22:23]
	s_and_b64 vcc, s[20:21], vcc
	v_cndmask_b32_e32 v51, v4, v56, vcc
; %bb.1060:                             ;   in Loop: Header=BB6_954 Depth=2
	s_or_b64 exec, exec, s[76:77]
.LBB6_1061:                             ;   in Loop: Header=BB6_954 Depth=2
	s_or_b64 exec, exec, s[24:25]
.LBB6_1062:                             ;   in Loop: Header=BB6_954 Depth=2
	v_perm_b32 v31, v32, v26, s34
	v_lshrrev_b32_e32 v36, 16, v32
	v_lshrrev_b32_e32 v32, 16, v26
	v_and_b32_e32 v4, 0x7fff, v32
	v_and_b32_e32 v42, 0x7fff, v36
	v_cmp_lt_u16_e64 s[20:21], s95, v4
	v_cmp_gt_u16_e64 s[22:23], s31, v42
	s_and_b64 s[76:77], s[20:21], s[22:23]
	s_mov_b64 s[24:25], -1
	s_and_b64 vcc, exec, s[18:19]
	s_xor_b64 s[76:77], s[76:77], -1
                                        ; implicit-def: $vgpr26
	s_cbranch_vccnz .LBB6_1068
; %bb.1063:                             ;   in Loop: Header=BB6_954 Depth=2
	v_mov_b32_e32 v26, v36
	s_and_saveexec_b64 s[78:79], s[76:77]
	s_cbranch_execz .LBB6_1067
; %bb.1064:                             ;   in Loop: Header=BB6_954 Depth=2
	s_or_b64 s[24:25], s[20:21], s[22:23]
	v_mov_b32_e32 v26, v32
	s_and_saveexec_b64 s[88:89], s[24:25]
; %bb.1065:                             ;   in Loop: Header=BB6_954 Depth=2
	v_lshrrev_b32_e32 v4, 16, v31
	v_cmp_lt_u16_e32 vcc, s95, v42
	v_cmp_gt_f16_e64 s[24:25], v31, v4
	v_cndmask_b32_e64 v4, v4, v31, s[24:25]
	s_and_b64 vcc, s[20:21], vcc
	v_cndmask_b32_e32 v26, v4, v56, vcc
; %bb.1066:                             ;   in Loop: Header=BB6_954 Depth=2
	s_or_b64 exec, exec, s[88:89]
.LBB6_1067:                             ;   in Loop: Header=BB6_954 Depth=2
	s_or_b64 exec, exec, s[78:79]
	s_mov_b64 s[24:25], 0
.LBB6_1068:                             ;   in Loop: Header=BB6_954 Depth=2
	s_andn2_b64 vcc, exec, s[24:25]
	s_cbranch_vccnz .LBB6_1074
; %bb.1069:                             ;   in Loop: Header=BB6_954 Depth=2
	s_and_saveexec_b64 s[24:25], s[76:77]
	s_cbranch_execz .LBB6_1073
; %bb.1070:                             ;   in Loop: Header=BB6_954 Depth=2
	s_or_b64 s[22:23], s[20:21], s[22:23]
	s_and_saveexec_b64 s[76:77], s[22:23]
; %bb.1071:                             ;   in Loop: Header=BB6_954 Depth=2
	v_lshrrev_b32_e32 v4, 16, v31
	v_cmp_lt_u16_e32 vcc, s95, v42
	v_cmp_gt_f16_e64 s[22:23], v31, v4
	v_cndmask_b32_e64 v4, v31, v4, s[22:23]
	s_and_b64 vcc, s[20:21], vcc
	v_cndmask_b32_e32 v32, v4, v56, vcc
; %bb.1072:                             ;   in Loop: Header=BB6_954 Depth=2
	s_or_b64 exec, exec, s[76:77]
	v_mov_b32_e32 v36, v32
.LBB6_1073:                             ;   in Loop: Header=BB6_954 Depth=2
	s_or_b64 exec, exec, s[24:25]
	v_mov_b32_e32 v26, v36
.LBB6_1074:                             ;   in Loop: Header=BB6_954 Depth=2
	v_and_b32_e32 v4, 0x7fff, v27
	v_and_b32_e32 v36, 0x7fff, v33
	v_cmp_lt_u16_e64 s[20:21], s95, v4
	v_cmp_gt_u16_e64 s[22:23], s31, v36
	s_and_b64 s[76:77], s[20:21], s[22:23]
	v_perm_b32 v31, v33, v27, s35
	s_mov_b64 s[24:25], -1
	s_and_b64 vcc, exec, s[18:19]
	s_xor_b64 s[76:77], s[76:77], -1
                                        ; implicit-def: $vgpr32
	s_cbranch_vccnz .LBB6_1080
; %bb.1075:                             ;   in Loop: Header=BB6_954 Depth=2
	v_mov_b32_e32 v32, v33
	s_and_saveexec_b64 s[78:79], s[76:77]
	s_cbranch_execz .LBB6_1079
; %bb.1076:                             ;   in Loop: Header=BB6_954 Depth=2
	s_or_b64 s[24:25], s[20:21], s[22:23]
	v_mov_b32_e32 v32, v27
	s_and_saveexec_b64 s[88:89], s[24:25]
; %bb.1077:                             ;   in Loop: Header=BB6_954 Depth=2
	v_lshrrev_b32_e32 v4, 16, v31
	v_cmp_lt_u16_e32 vcc, s95, v36
	v_cmp_gt_f16_e64 s[24:25], v31, v4
	v_cndmask_b32_e64 v4, v4, v31, s[24:25]
	s_and_b64 vcc, s[20:21], vcc
	v_cndmask_b32_e32 v32, v4, v56, vcc
; %bb.1078:                             ;   in Loop: Header=BB6_954 Depth=2
	s_or_b64 exec, exec, s[88:89]
.LBB6_1079:                             ;   in Loop: Header=BB6_954 Depth=2
	s_or_b64 exec, exec, s[78:79]
	s_mov_b64 s[24:25], 0
.LBB6_1080:                             ;   in Loop: Header=BB6_954 Depth=2
	s_andn2_b64 vcc, exec, s[24:25]
	s_cbranch_vccnz .LBB6_1086
; %bb.1081:                             ;   in Loop: Header=BB6_954 Depth=2
	v_mov_b32_e32 v32, v33
	s_and_saveexec_b64 s[24:25], s[76:77]
	s_cbranch_execz .LBB6_1085
; %bb.1082:                             ;   in Loop: Header=BB6_954 Depth=2
	s_or_b64 s[22:23], s[20:21], s[22:23]
	v_mov_b32_e32 v32, v27
	s_and_saveexec_b64 s[76:77], s[22:23]
; %bb.1083:                             ;   in Loop: Header=BB6_954 Depth=2
	v_lshrrev_b32_e32 v4, 16, v31
	v_cmp_lt_u16_e32 vcc, s95, v36
	v_cmp_gt_f16_e64 s[22:23], v31, v4
	v_cndmask_b32_e64 v4, v31, v4, s[22:23]
	s_and_b64 vcc, s[20:21], vcc
	v_cndmask_b32_e32 v32, v4, v56, vcc
; %bb.1084:                             ;   in Loop: Header=BB6_954 Depth=2
	s_or_b64 exec, exec, s[76:77]
.LBB6_1085:                             ;   in Loop: Header=BB6_954 Depth=2
	s_or_b64 exec, exec, s[24:25]
.LBB6_1086:                             ;   in Loop: Header=BB6_954 Depth=2
	v_lshrrev_b32_e32 v31, 16, v27
	v_lshrrev_b32_e32 v36, 16, v33
	v_and_b32_e32 v4, 0x7fff, v31
	v_and_b32_e32 v42, 0x7fff, v36
	v_cmp_lt_u16_e64 s[20:21], s95, v4
	v_cmp_gt_u16_e64 s[22:23], s31, v42
	s_and_b64 s[76:77], s[20:21], s[22:23]
	v_perm_b32 v33, v33, v27, s34
	s_mov_b64 s[24:25], -1
	s_and_b64 vcc, exec, s[18:19]
	s_xor_b64 s[76:77], s[76:77], -1
                                        ; implicit-def: $vgpr27
	s_cbranch_vccnz .LBB6_1092
; %bb.1087:                             ;   in Loop: Header=BB6_954 Depth=2
	v_mov_b32_e32 v27, v36
	s_and_saveexec_b64 s[78:79], s[76:77]
	s_cbranch_execz .LBB6_1091
; %bb.1088:                             ;   in Loop: Header=BB6_954 Depth=2
	s_or_b64 s[24:25], s[20:21], s[22:23]
	v_mov_b32_e32 v27, v31
	s_and_saveexec_b64 s[88:89], s[24:25]
; %bb.1089:                             ;   in Loop: Header=BB6_954 Depth=2
	v_lshrrev_b32_e32 v4, 16, v33
	v_cmp_lt_u16_e32 vcc, s95, v42
	v_cmp_gt_f16_e64 s[24:25], v33, v4
	v_cndmask_b32_e64 v4, v4, v33, s[24:25]
	s_and_b64 vcc, s[20:21], vcc
	v_cndmask_b32_e32 v27, v4, v56, vcc
; %bb.1090:                             ;   in Loop: Header=BB6_954 Depth=2
	s_or_b64 exec, exec, s[88:89]
.LBB6_1091:                             ;   in Loop: Header=BB6_954 Depth=2
	s_or_b64 exec, exec, s[78:79]
	s_mov_b64 s[24:25], 0
.LBB6_1092:                             ;   in Loop: Header=BB6_954 Depth=2
	s_andn2_b64 vcc, exec, s[24:25]
	s_cbranch_vccnz .LBB6_1098
; %bb.1093:                             ;   in Loop: Header=BB6_954 Depth=2
	s_and_saveexec_b64 s[24:25], s[76:77]
	s_cbranch_execz .LBB6_1097
; %bb.1094:                             ;   in Loop: Header=BB6_954 Depth=2
	s_or_b64 s[22:23], s[20:21], s[22:23]
	s_and_saveexec_b64 s[76:77], s[22:23]
; %bb.1095:                             ;   in Loop: Header=BB6_954 Depth=2
	v_lshrrev_b32_e32 v4, 16, v33
	v_cmp_lt_u16_e32 vcc, s95, v42
	v_cmp_gt_f16_e64 s[22:23], v33, v4
	v_cndmask_b32_e64 v4, v33, v4, s[22:23]
	s_and_b64 vcc, s[20:21], vcc
	v_cndmask_b32_e32 v31, v4, v56, vcc
; %bb.1096:                             ;   in Loop: Header=BB6_954 Depth=2
	s_or_b64 exec, exec, s[76:77]
	v_mov_b32_e32 v36, v31
.LBB6_1097:                             ;   in Loop: Header=BB6_954 Depth=2
	s_or_b64 exec, exec, s[24:25]
	v_mov_b32_e32 v27, v36
.LBB6_1098:                             ;   in Loop: Header=BB6_954 Depth=2
	v_and_b32_e32 v4, 0x7fff, v28
	v_and_b32_e32 v31, 0x7fff, v34
	v_cmp_lt_u16_e64 s[20:21], s95, v4
	v_cmp_gt_u16_e64 s[22:23], s31, v31
	s_and_b64 s[76:77], s[20:21], s[22:23]
	s_mov_b64 s[24:25], -1
	s_and_b64 vcc, exec, s[18:19]
	s_xor_b64 s[76:77], s[76:77], -1
                                        ; implicit-def: $vgpr33
	s_cbranch_vccnz .LBB6_1104
; %bb.1099:                             ;   in Loop: Header=BB6_954 Depth=2
	v_mov_b32_e32 v33, v34
	s_and_saveexec_b64 s[78:79], s[76:77]
	s_cbranch_execz .LBB6_1103
; %bb.1100:                             ;   in Loop: Header=BB6_954 Depth=2
	s_or_b64 s[24:25], s[20:21], s[22:23]
	v_mov_b32_e32 v33, v28
	s_and_saveexec_b64 s[88:89], s[24:25]
; %bb.1101:                             ;   in Loop: Header=BB6_954 Depth=2
	v_cmp_lt_u16_e32 vcc, s95, v31
	v_cmp_gt_f16_e64 s[24:25], v28, v34
	v_cndmask_b32_e64 v4, v34, v28, s[24:25]
	s_and_b64 vcc, s[20:21], vcc
	v_cndmask_b32_e32 v33, v4, v56, vcc
; %bb.1102:                             ;   in Loop: Header=BB6_954 Depth=2
	s_or_b64 exec, exec, s[88:89]
.LBB6_1103:                             ;   in Loop: Header=BB6_954 Depth=2
	s_or_b64 exec, exec, s[78:79]
	s_mov_b64 s[24:25], 0
.LBB6_1104:                             ;   in Loop: Header=BB6_954 Depth=2
	s_andn2_b64 vcc, exec, s[24:25]
	s_cbranch_vccnz .LBB6_1110
; %bb.1105:                             ;   in Loop: Header=BB6_954 Depth=2
	v_mov_b32_e32 v33, v34
	s_and_saveexec_b64 s[24:25], s[76:77]
	s_cbranch_execz .LBB6_1109
; %bb.1106:                             ;   in Loop: Header=BB6_954 Depth=2
	s_or_b64 s[22:23], s[20:21], s[22:23]
	v_mov_b32_e32 v33, v28
	s_and_saveexec_b64 s[76:77], s[22:23]
; %bb.1107:                             ;   in Loop: Header=BB6_954 Depth=2
	v_cmp_lt_u16_e32 vcc, s95, v31
	v_cmp_gt_f16_e64 s[22:23], v28, v34
	v_cndmask_b32_e64 v4, v28, v34, s[22:23]
	s_and_b64 vcc, s[20:21], vcc
	v_cndmask_b32_e32 v33, v4, v56, vcc
; %bb.1108:                             ;   in Loop: Header=BB6_954 Depth=2
	s_or_b64 exec, exec, s[76:77]
.LBB6_1109:                             ;   in Loop: Header=BB6_954 Depth=2
	s_or_b64 exec, exec, s[24:25]
.LBB6_1110:                             ;   in Loop: Header=BB6_954 Depth=2
	v_perm_b32 v31, v34, v28, s34
	v_lshrrev_b32_e32 v36, 16, v34
	v_lshrrev_b32_e32 v34, 16, v28
	v_and_b32_e32 v4, 0x7fff, v34
	v_and_b32_e32 v42, 0x7fff, v36
	v_cmp_lt_u16_e64 s[20:21], s95, v4
	v_cmp_gt_u16_e64 s[22:23], s31, v42
	s_and_b64 s[76:77], s[20:21], s[22:23]
	s_mov_b64 s[24:25], -1
	s_and_b64 vcc, exec, s[18:19]
	s_xor_b64 s[76:77], s[76:77], -1
                                        ; implicit-def: $vgpr28
	s_cbranch_vccnz .LBB6_1116
; %bb.1111:                             ;   in Loop: Header=BB6_954 Depth=2
	v_mov_b32_e32 v28, v36
	s_and_saveexec_b64 s[78:79], s[76:77]
	s_cbranch_execz .LBB6_1115
; %bb.1112:                             ;   in Loop: Header=BB6_954 Depth=2
	s_or_b64 s[24:25], s[20:21], s[22:23]
	v_mov_b32_e32 v28, v34
	s_and_saveexec_b64 s[88:89], s[24:25]
; %bb.1113:                             ;   in Loop: Header=BB6_954 Depth=2
	v_lshrrev_b32_e32 v4, 16, v31
	v_cmp_lt_u16_e32 vcc, s95, v42
	v_cmp_gt_f16_e64 s[24:25], v31, v4
	v_cndmask_b32_e64 v4, v4, v31, s[24:25]
	s_and_b64 vcc, s[20:21], vcc
	v_cndmask_b32_e32 v28, v4, v56, vcc
; %bb.1114:                             ;   in Loop: Header=BB6_954 Depth=2
	s_or_b64 exec, exec, s[88:89]
.LBB6_1115:                             ;   in Loop: Header=BB6_954 Depth=2
	s_or_b64 exec, exec, s[78:79]
	s_mov_b64 s[24:25], 0
.LBB6_1116:                             ;   in Loop: Header=BB6_954 Depth=2
	s_andn2_b64 vcc, exec, s[24:25]
	s_cbranch_vccnz .LBB6_1122
; %bb.1117:                             ;   in Loop: Header=BB6_954 Depth=2
	s_and_saveexec_b64 s[24:25], s[76:77]
	s_cbranch_execz .LBB6_1121
; %bb.1118:                             ;   in Loop: Header=BB6_954 Depth=2
	s_or_b64 s[22:23], s[20:21], s[22:23]
	s_and_saveexec_b64 s[76:77], s[22:23]
; %bb.1119:                             ;   in Loop: Header=BB6_954 Depth=2
	v_lshrrev_b32_e32 v4, 16, v31
	v_cmp_lt_u16_e32 vcc, s95, v42
	v_cmp_gt_f16_e64 s[22:23], v31, v4
	v_cndmask_b32_e64 v4, v31, v4, s[22:23]
	s_and_b64 vcc, s[20:21], vcc
	v_cndmask_b32_e32 v34, v4, v56, vcc
; %bb.1120:                             ;   in Loop: Header=BB6_954 Depth=2
	s_or_b64 exec, exec, s[76:77]
	v_mov_b32_e32 v36, v34
.LBB6_1121:                             ;   in Loop: Header=BB6_954 Depth=2
	s_or_b64 exec, exec, s[24:25]
	v_mov_b32_e32 v28, v36
.LBB6_1122:                             ;   in Loop: Header=BB6_954 Depth=2
	v_and_b32_e32 v4, 0x7fff, v29
	v_and_b32_e32 v36, 0x7fff, v35
	v_cmp_lt_u16_e64 s[20:21], s95, v4
	v_cmp_gt_u16_e64 s[22:23], s31, v36
	s_and_b64 s[76:77], s[20:21], s[22:23]
	v_perm_b32 v31, v35, v29, s35
	s_mov_b64 s[24:25], -1
	s_and_b64 vcc, exec, s[18:19]
	s_xor_b64 s[76:77], s[76:77], -1
                                        ; implicit-def: $vgpr34
	s_cbranch_vccnz .LBB6_1128
; %bb.1123:                             ;   in Loop: Header=BB6_954 Depth=2
	v_mov_b32_e32 v34, v35
	s_and_saveexec_b64 s[78:79], s[76:77]
	s_cbranch_execz .LBB6_1127
; %bb.1124:                             ;   in Loop: Header=BB6_954 Depth=2
	s_or_b64 s[24:25], s[20:21], s[22:23]
	v_mov_b32_e32 v34, v29
	s_and_saveexec_b64 s[88:89], s[24:25]
; %bb.1125:                             ;   in Loop: Header=BB6_954 Depth=2
	v_lshrrev_b32_e32 v4, 16, v31
	v_cmp_lt_u16_e32 vcc, s95, v36
	v_cmp_gt_f16_e64 s[24:25], v31, v4
	v_cndmask_b32_e64 v4, v4, v31, s[24:25]
	s_and_b64 vcc, s[20:21], vcc
	v_cndmask_b32_e32 v34, v4, v56, vcc
; %bb.1126:                             ;   in Loop: Header=BB6_954 Depth=2
	s_or_b64 exec, exec, s[88:89]
.LBB6_1127:                             ;   in Loop: Header=BB6_954 Depth=2
	s_or_b64 exec, exec, s[78:79]
	s_mov_b64 s[24:25], 0
.LBB6_1128:                             ;   in Loop: Header=BB6_954 Depth=2
	s_andn2_b64 vcc, exec, s[24:25]
	s_cbranch_vccnz .LBB6_1134
; %bb.1129:                             ;   in Loop: Header=BB6_954 Depth=2
	v_mov_b32_e32 v34, v35
	s_and_saveexec_b64 s[24:25], s[76:77]
	s_cbranch_execz .LBB6_1133
; %bb.1130:                             ;   in Loop: Header=BB6_954 Depth=2
	s_or_b64 s[22:23], s[20:21], s[22:23]
	v_mov_b32_e32 v34, v29
	s_and_saveexec_b64 s[76:77], s[22:23]
; %bb.1131:                             ;   in Loop: Header=BB6_954 Depth=2
	v_lshrrev_b32_e32 v4, 16, v31
	v_cmp_lt_u16_e32 vcc, s95, v36
	v_cmp_gt_f16_e64 s[22:23], v31, v4
	v_cndmask_b32_e64 v4, v31, v4, s[22:23]
	s_and_b64 vcc, s[20:21], vcc
	v_cndmask_b32_e32 v34, v4, v56, vcc
; %bb.1132:                             ;   in Loop: Header=BB6_954 Depth=2
	s_or_b64 exec, exec, s[76:77]
.LBB6_1133:                             ;   in Loop: Header=BB6_954 Depth=2
	s_or_b64 exec, exec, s[24:25]
.LBB6_1134:                             ;   in Loop: Header=BB6_954 Depth=2
	v_lshrrev_b32_e32 v31, 16, v29
	v_lshrrev_b32_e32 v36, 16, v35
	v_and_b32_e32 v4, 0x7fff, v31
	v_and_b32_e32 v42, 0x7fff, v36
	v_cmp_lt_u16_e64 s[20:21], s95, v4
	v_cmp_gt_u16_e64 s[22:23], s31, v42
	s_and_b64 s[76:77], s[20:21], s[22:23]
	v_perm_b32 v35, v35, v29, s34
	s_mov_b64 s[24:25], -1
	s_and_b64 vcc, exec, s[18:19]
	s_xor_b64 s[76:77], s[76:77], -1
                                        ; implicit-def: $vgpr29
	s_cbranch_vccnz .LBB6_1140
; %bb.1135:                             ;   in Loop: Header=BB6_954 Depth=2
	v_mov_b32_e32 v29, v36
	s_and_saveexec_b64 s[78:79], s[76:77]
	s_cbranch_execz .LBB6_1139
; %bb.1136:                             ;   in Loop: Header=BB6_954 Depth=2
	s_or_b64 s[24:25], s[20:21], s[22:23]
	v_mov_b32_e32 v29, v31
	s_and_saveexec_b64 s[88:89], s[24:25]
; %bb.1137:                             ;   in Loop: Header=BB6_954 Depth=2
	v_lshrrev_b32_e32 v4, 16, v35
	v_cmp_lt_u16_e32 vcc, s95, v42
	v_cmp_gt_f16_e64 s[24:25], v35, v4
	v_cndmask_b32_e64 v4, v4, v35, s[24:25]
	s_and_b64 vcc, s[20:21], vcc
	v_cndmask_b32_e32 v29, v4, v56, vcc
; %bb.1138:                             ;   in Loop: Header=BB6_954 Depth=2
	s_or_b64 exec, exec, s[88:89]
.LBB6_1139:                             ;   in Loop: Header=BB6_954 Depth=2
	s_or_b64 exec, exec, s[78:79]
	s_mov_b64 s[24:25], 0
.LBB6_1140:                             ;   in Loop: Header=BB6_954 Depth=2
	s_andn2_b64 vcc, exec, s[24:25]
	s_cbranch_vccnz .LBB6_1146
; %bb.1141:                             ;   in Loop: Header=BB6_954 Depth=2
	s_and_saveexec_b64 s[24:25], s[76:77]
	s_cbranch_execz .LBB6_1145
; %bb.1142:                             ;   in Loop: Header=BB6_954 Depth=2
	s_or_b64 s[22:23], s[20:21], s[22:23]
	s_and_saveexec_b64 s[76:77], s[22:23]
; %bb.1143:                             ;   in Loop: Header=BB6_954 Depth=2
	v_lshrrev_b32_e32 v4, 16, v35
	v_cmp_lt_u16_e32 vcc, s95, v42
	v_cmp_gt_f16_e64 s[22:23], v35, v4
	v_cndmask_b32_e64 v4, v35, v4, s[22:23]
	s_and_b64 vcc, s[20:21], vcc
	v_cndmask_b32_e32 v31, v4, v56, vcc
; %bb.1144:                             ;   in Loop: Header=BB6_954 Depth=2
	s_or_b64 exec, exec, s[76:77]
	v_mov_b32_e32 v36, v31
.LBB6_1145:                             ;   in Loop: Header=BB6_954 Depth=2
	s_or_b64 exec, exec, s[24:25]
	v_mov_b32_e32 v29, v36
.LBB6_1146:                             ;   in Loop: Header=BB6_954 Depth=2
	v_and_b32_e32 v4, 0x7fff, v18
	s_waitcnt vmcnt(1)
	v_and_b32_e32 v31, 0x7fff, v22
	v_cmp_lt_u16_e64 s[20:21], s95, v4
	v_cmp_gt_u16_e64 s[22:23], s31, v31
	s_and_b64 s[76:77], s[20:21], s[22:23]
	s_mov_b64 s[24:25], -1
	s_and_b64 vcc, exec, s[18:19]
	s_xor_b64 s[76:77], s[76:77], -1
                                        ; implicit-def: $vgpr35
	s_cbranch_vccnz .LBB6_1152
; %bb.1147:                             ;   in Loop: Header=BB6_954 Depth=2
	v_mov_b32_e32 v35, v22
	s_and_saveexec_b64 s[78:79], s[76:77]
	s_cbranch_execz .LBB6_1151
; %bb.1148:                             ;   in Loop: Header=BB6_954 Depth=2
	s_or_b64 s[24:25], s[20:21], s[22:23]
	v_mov_b32_e32 v35, v18
	s_and_saveexec_b64 s[88:89], s[24:25]
; %bb.1149:                             ;   in Loop: Header=BB6_954 Depth=2
	v_cmp_lt_u16_e32 vcc, s95, v31
	v_cmp_gt_f16_e64 s[24:25], v18, v22
	v_cndmask_b32_e64 v4, v22, v18, s[24:25]
	s_and_b64 vcc, s[20:21], vcc
	v_cndmask_b32_e32 v35, v4, v56, vcc
; %bb.1150:                             ;   in Loop: Header=BB6_954 Depth=2
	s_or_b64 exec, exec, s[88:89]
.LBB6_1151:                             ;   in Loop: Header=BB6_954 Depth=2
	s_or_b64 exec, exec, s[78:79]
	s_mov_b64 s[24:25], 0
.LBB6_1152:                             ;   in Loop: Header=BB6_954 Depth=2
	s_andn2_b64 vcc, exec, s[24:25]
	s_cbranch_vccnz .LBB6_1158
; %bb.1153:                             ;   in Loop: Header=BB6_954 Depth=2
	v_mov_b32_e32 v35, v22
	s_and_saveexec_b64 s[24:25], s[76:77]
	s_cbranch_execz .LBB6_1157
; %bb.1154:                             ;   in Loop: Header=BB6_954 Depth=2
	s_or_b64 s[22:23], s[20:21], s[22:23]
	v_mov_b32_e32 v35, v18
	s_and_saveexec_b64 s[76:77], s[22:23]
; %bb.1155:                             ;   in Loop: Header=BB6_954 Depth=2
	v_cmp_lt_u16_e32 vcc, s95, v31
	v_cmp_gt_f16_e64 s[22:23], v18, v22
	v_cndmask_b32_e64 v4, v18, v22, s[22:23]
	s_and_b64 vcc, s[20:21], vcc
	v_cndmask_b32_e32 v35, v4, v56, vcc
; %bb.1156:                             ;   in Loop: Header=BB6_954 Depth=2
	s_or_b64 exec, exec, s[76:77]
.LBB6_1157:                             ;   in Loop: Header=BB6_954 Depth=2
	s_or_b64 exec, exec, s[24:25]
.LBB6_1158:                             ;   in Loop: Header=BB6_954 Depth=2
	v_perm_b32 v31, v22, v18, s34
	v_lshrrev_b32_e32 v36, 16, v22
	v_lshrrev_b32_e32 v22, 16, v18
	v_and_b32_e32 v4, 0x7fff, v22
	v_and_b32_e32 v42, 0x7fff, v36
	v_cmp_lt_u16_e64 s[20:21], s95, v4
	v_cmp_gt_u16_e64 s[22:23], s31, v42
	s_and_b64 s[76:77], s[20:21], s[22:23]
	s_mov_b64 s[24:25], -1
	s_and_b64 vcc, exec, s[18:19]
	s_xor_b64 s[76:77], s[76:77], -1
                                        ; implicit-def: $vgpr18
	s_cbranch_vccnz .LBB6_1164
; %bb.1159:                             ;   in Loop: Header=BB6_954 Depth=2
	v_mov_b32_e32 v18, v36
	s_and_saveexec_b64 s[78:79], s[76:77]
	s_cbranch_execz .LBB6_1163
; %bb.1160:                             ;   in Loop: Header=BB6_954 Depth=2
	s_or_b64 s[24:25], s[20:21], s[22:23]
	v_mov_b32_e32 v18, v22
	s_and_saveexec_b64 s[88:89], s[24:25]
; %bb.1161:                             ;   in Loop: Header=BB6_954 Depth=2
	v_lshrrev_b32_e32 v4, 16, v31
	v_cmp_lt_u16_e32 vcc, s95, v42
	v_cmp_gt_f16_e64 s[24:25], v31, v4
	v_cndmask_b32_e64 v4, v4, v31, s[24:25]
	s_and_b64 vcc, s[20:21], vcc
	v_cndmask_b32_e32 v18, v4, v56, vcc
; %bb.1162:                             ;   in Loop: Header=BB6_954 Depth=2
	s_or_b64 exec, exec, s[88:89]
.LBB6_1163:                             ;   in Loop: Header=BB6_954 Depth=2
	s_or_b64 exec, exec, s[78:79]
	s_mov_b64 s[24:25], 0
.LBB6_1164:                             ;   in Loop: Header=BB6_954 Depth=2
	s_andn2_b64 vcc, exec, s[24:25]
	s_cbranch_vccnz .LBB6_1170
; %bb.1165:                             ;   in Loop: Header=BB6_954 Depth=2
	s_and_saveexec_b64 s[24:25], s[76:77]
	s_cbranch_execz .LBB6_1169
; %bb.1166:                             ;   in Loop: Header=BB6_954 Depth=2
	s_or_b64 s[22:23], s[20:21], s[22:23]
	s_and_saveexec_b64 s[76:77], s[22:23]
; %bb.1167:                             ;   in Loop: Header=BB6_954 Depth=2
	v_lshrrev_b32_e32 v4, 16, v31
	v_cmp_lt_u16_e32 vcc, s95, v42
	v_cmp_gt_f16_e64 s[22:23], v31, v4
	v_cndmask_b32_e64 v4, v31, v4, s[22:23]
	s_and_b64 vcc, s[20:21], vcc
	v_cndmask_b32_e32 v22, v4, v56, vcc
; %bb.1168:                             ;   in Loop: Header=BB6_954 Depth=2
	s_or_b64 exec, exec, s[76:77]
	v_mov_b32_e32 v36, v22
.LBB6_1169:                             ;   in Loop: Header=BB6_954 Depth=2
	s_or_b64 exec, exec, s[24:25]
	v_mov_b32_e32 v18, v36
.LBB6_1170:                             ;   in Loop: Header=BB6_954 Depth=2
	v_and_b32_e32 v4, 0x7fff, v19
	v_and_b32_e32 v36, 0x7fff, v23
	v_cmp_lt_u16_e64 s[20:21], s95, v4
	v_cmp_gt_u16_e64 s[22:23], s31, v36
	s_and_b64 s[76:77], s[20:21], s[22:23]
	v_perm_b32 v31, v23, v19, s35
	s_mov_b64 s[24:25], -1
	s_and_b64 vcc, exec, s[18:19]
	s_xor_b64 s[76:77], s[76:77], -1
                                        ; implicit-def: $vgpr22
	s_cbranch_vccnz .LBB6_1176
; %bb.1171:                             ;   in Loop: Header=BB6_954 Depth=2
	v_mov_b32_e32 v22, v23
	s_and_saveexec_b64 s[78:79], s[76:77]
	s_cbranch_execz .LBB6_1175
; %bb.1172:                             ;   in Loop: Header=BB6_954 Depth=2
	s_or_b64 s[24:25], s[20:21], s[22:23]
	v_mov_b32_e32 v22, v19
	s_and_saveexec_b64 s[88:89], s[24:25]
; %bb.1173:                             ;   in Loop: Header=BB6_954 Depth=2
	v_lshrrev_b32_e32 v4, 16, v31
	v_cmp_lt_u16_e32 vcc, s95, v36
	v_cmp_gt_f16_e64 s[24:25], v31, v4
	v_cndmask_b32_e64 v4, v4, v31, s[24:25]
	s_and_b64 vcc, s[20:21], vcc
	v_cndmask_b32_e32 v22, v4, v56, vcc
; %bb.1174:                             ;   in Loop: Header=BB6_954 Depth=2
	s_or_b64 exec, exec, s[88:89]
.LBB6_1175:                             ;   in Loop: Header=BB6_954 Depth=2
	s_or_b64 exec, exec, s[78:79]
	s_mov_b64 s[24:25], 0
.LBB6_1176:                             ;   in Loop: Header=BB6_954 Depth=2
	s_andn2_b64 vcc, exec, s[24:25]
	s_cbranch_vccnz .LBB6_1182
; %bb.1177:                             ;   in Loop: Header=BB6_954 Depth=2
	v_mov_b32_e32 v22, v23
	s_and_saveexec_b64 s[24:25], s[76:77]
	s_cbranch_execz .LBB6_1181
; %bb.1178:                             ;   in Loop: Header=BB6_954 Depth=2
	s_or_b64 s[22:23], s[20:21], s[22:23]
	v_mov_b32_e32 v22, v19
	s_and_saveexec_b64 s[76:77], s[22:23]
; %bb.1179:                             ;   in Loop: Header=BB6_954 Depth=2
	v_lshrrev_b32_e32 v4, 16, v31
	v_cmp_lt_u16_e32 vcc, s95, v36
	v_cmp_gt_f16_e64 s[22:23], v31, v4
	v_cndmask_b32_e64 v4, v31, v4, s[22:23]
	s_and_b64 vcc, s[20:21], vcc
	v_cndmask_b32_e32 v22, v4, v56, vcc
; %bb.1180:                             ;   in Loop: Header=BB6_954 Depth=2
	s_or_b64 exec, exec, s[76:77]
.LBB6_1181:                             ;   in Loop: Header=BB6_954 Depth=2
	s_or_b64 exec, exec, s[24:25]
.LBB6_1182:                             ;   in Loop: Header=BB6_954 Depth=2
	v_lshrrev_b32_e32 v31, 16, v19
	v_lshrrev_b32_e32 v36, 16, v23
	v_and_b32_e32 v4, 0x7fff, v31
	v_and_b32_e32 v42, 0x7fff, v36
	v_cmp_lt_u16_e64 s[20:21], s95, v4
	v_cmp_gt_u16_e64 s[22:23], s31, v42
	s_and_b64 s[76:77], s[20:21], s[22:23]
	v_perm_b32 v23, v23, v19, s34
	s_mov_b64 s[24:25], -1
	s_and_b64 vcc, exec, s[18:19]
	s_xor_b64 s[76:77], s[76:77], -1
                                        ; implicit-def: $vgpr19
	s_cbranch_vccnz .LBB6_1188
; %bb.1183:                             ;   in Loop: Header=BB6_954 Depth=2
	v_mov_b32_e32 v19, v36
	s_and_saveexec_b64 s[78:79], s[76:77]
	s_cbranch_execz .LBB6_1187
; %bb.1184:                             ;   in Loop: Header=BB6_954 Depth=2
	s_or_b64 s[24:25], s[20:21], s[22:23]
	v_mov_b32_e32 v19, v31
	s_and_saveexec_b64 s[88:89], s[24:25]
; %bb.1185:                             ;   in Loop: Header=BB6_954 Depth=2
	v_lshrrev_b32_e32 v4, 16, v23
	v_cmp_lt_u16_e32 vcc, s95, v42
	v_cmp_gt_f16_e64 s[24:25], v23, v4
	v_cndmask_b32_e64 v4, v4, v23, s[24:25]
	s_and_b64 vcc, s[20:21], vcc
	v_cndmask_b32_e32 v19, v4, v56, vcc
; %bb.1186:                             ;   in Loop: Header=BB6_954 Depth=2
	s_or_b64 exec, exec, s[88:89]
.LBB6_1187:                             ;   in Loop: Header=BB6_954 Depth=2
	s_or_b64 exec, exec, s[78:79]
	s_mov_b64 s[24:25], 0
.LBB6_1188:                             ;   in Loop: Header=BB6_954 Depth=2
	s_andn2_b64 vcc, exec, s[24:25]
	s_cbranch_vccnz .LBB6_1194
; %bb.1189:                             ;   in Loop: Header=BB6_954 Depth=2
	s_and_saveexec_b64 s[24:25], s[76:77]
	s_cbranch_execz .LBB6_1193
; %bb.1190:                             ;   in Loop: Header=BB6_954 Depth=2
	s_or_b64 s[22:23], s[20:21], s[22:23]
	s_and_saveexec_b64 s[76:77], s[22:23]
; %bb.1191:                             ;   in Loop: Header=BB6_954 Depth=2
	v_lshrrev_b32_e32 v4, 16, v23
	v_cmp_lt_u16_e32 vcc, s95, v42
	v_cmp_gt_f16_e64 s[22:23], v23, v4
	v_cndmask_b32_e64 v4, v23, v4, s[22:23]
	s_and_b64 vcc, s[20:21], vcc
	v_cndmask_b32_e32 v31, v4, v56, vcc
; %bb.1192:                             ;   in Loop: Header=BB6_954 Depth=2
	s_or_b64 exec, exec, s[76:77]
	v_mov_b32_e32 v36, v31
.LBB6_1193:                             ;   in Loop: Header=BB6_954 Depth=2
	s_or_b64 exec, exec, s[24:25]
	v_mov_b32_e32 v19, v36
.LBB6_1194:                             ;   in Loop: Header=BB6_954 Depth=2
	v_and_b32_e32 v4, 0x7fff, v20
	v_and_b32_e32 v31, 0x7fff, v24
	v_cmp_lt_u16_e64 s[20:21], s95, v4
	v_cmp_gt_u16_e64 s[22:23], s31, v31
	s_and_b64 s[76:77], s[20:21], s[22:23]
	s_mov_b64 s[24:25], -1
	s_and_b64 vcc, exec, s[18:19]
	s_xor_b64 s[76:77], s[76:77], -1
                                        ; implicit-def: $vgpr23
	s_cbranch_vccnz .LBB6_1200
; %bb.1195:                             ;   in Loop: Header=BB6_954 Depth=2
	v_mov_b32_e32 v23, v24
	s_and_saveexec_b64 s[78:79], s[76:77]
	s_cbranch_execz .LBB6_1199
; %bb.1196:                             ;   in Loop: Header=BB6_954 Depth=2
	s_or_b64 s[24:25], s[20:21], s[22:23]
	v_mov_b32_e32 v23, v20
	s_and_saveexec_b64 s[88:89], s[24:25]
; %bb.1197:                             ;   in Loop: Header=BB6_954 Depth=2
	v_cmp_lt_u16_e32 vcc, s95, v31
	v_cmp_gt_f16_e64 s[24:25], v20, v24
	v_cndmask_b32_e64 v4, v24, v20, s[24:25]
	s_and_b64 vcc, s[20:21], vcc
	v_cndmask_b32_e32 v23, v4, v56, vcc
; %bb.1198:                             ;   in Loop: Header=BB6_954 Depth=2
	s_or_b64 exec, exec, s[88:89]
.LBB6_1199:                             ;   in Loop: Header=BB6_954 Depth=2
	s_or_b64 exec, exec, s[78:79]
	s_mov_b64 s[24:25], 0
.LBB6_1200:                             ;   in Loop: Header=BB6_954 Depth=2
	s_andn2_b64 vcc, exec, s[24:25]
	s_cbranch_vccnz .LBB6_1206
; %bb.1201:                             ;   in Loop: Header=BB6_954 Depth=2
	v_mov_b32_e32 v23, v24
	s_and_saveexec_b64 s[24:25], s[76:77]
	s_cbranch_execz .LBB6_1205
; %bb.1202:                             ;   in Loop: Header=BB6_954 Depth=2
	s_or_b64 s[22:23], s[20:21], s[22:23]
	v_mov_b32_e32 v23, v20
	s_and_saveexec_b64 s[76:77], s[22:23]
; %bb.1203:                             ;   in Loop: Header=BB6_954 Depth=2
	v_cmp_lt_u16_e32 vcc, s95, v31
	v_cmp_gt_f16_e64 s[22:23], v20, v24
	v_cndmask_b32_e64 v4, v20, v24, s[22:23]
	s_and_b64 vcc, s[20:21], vcc
	v_cndmask_b32_e32 v23, v4, v56, vcc
; %bb.1204:                             ;   in Loop: Header=BB6_954 Depth=2
	s_or_b64 exec, exec, s[76:77]
.LBB6_1205:                             ;   in Loop: Header=BB6_954 Depth=2
	s_or_b64 exec, exec, s[24:25]
.LBB6_1206:                             ;   in Loop: Header=BB6_954 Depth=2
	v_perm_b32 v31, v24, v20, s34
	v_lshrrev_b32_e32 v36, 16, v24
	v_lshrrev_b32_e32 v24, 16, v20
	v_and_b32_e32 v4, 0x7fff, v24
	v_and_b32_e32 v42, 0x7fff, v36
	v_cmp_lt_u16_e64 s[20:21], s95, v4
	v_cmp_gt_u16_e64 s[22:23], s31, v42
	s_and_b64 s[76:77], s[20:21], s[22:23]
	s_mov_b64 s[24:25], -1
	s_and_b64 vcc, exec, s[18:19]
	s_xor_b64 s[76:77], s[76:77], -1
                                        ; implicit-def: $vgpr20
	s_cbranch_vccnz .LBB6_1212
; %bb.1207:                             ;   in Loop: Header=BB6_954 Depth=2
	v_mov_b32_e32 v20, v36
	s_and_saveexec_b64 s[78:79], s[76:77]
	s_cbranch_execz .LBB6_1211
; %bb.1208:                             ;   in Loop: Header=BB6_954 Depth=2
	s_or_b64 s[24:25], s[20:21], s[22:23]
	v_mov_b32_e32 v20, v24
	s_and_saveexec_b64 s[88:89], s[24:25]
; %bb.1209:                             ;   in Loop: Header=BB6_954 Depth=2
	v_lshrrev_b32_e32 v4, 16, v31
	v_cmp_lt_u16_e32 vcc, s95, v42
	v_cmp_gt_f16_e64 s[24:25], v31, v4
	v_cndmask_b32_e64 v4, v4, v31, s[24:25]
	s_and_b64 vcc, s[20:21], vcc
	v_cndmask_b32_e32 v20, v4, v56, vcc
; %bb.1210:                             ;   in Loop: Header=BB6_954 Depth=2
	s_or_b64 exec, exec, s[88:89]
.LBB6_1211:                             ;   in Loop: Header=BB6_954 Depth=2
	s_or_b64 exec, exec, s[78:79]
	s_mov_b64 s[24:25], 0
.LBB6_1212:                             ;   in Loop: Header=BB6_954 Depth=2
	s_andn2_b64 vcc, exec, s[24:25]
	s_cbranch_vccnz .LBB6_1218
; %bb.1213:                             ;   in Loop: Header=BB6_954 Depth=2
	s_and_saveexec_b64 s[24:25], s[76:77]
	s_cbranch_execz .LBB6_1217
; %bb.1214:                             ;   in Loop: Header=BB6_954 Depth=2
	s_or_b64 s[22:23], s[20:21], s[22:23]
	s_and_saveexec_b64 s[76:77], s[22:23]
; %bb.1215:                             ;   in Loop: Header=BB6_954 Depth=2
	v_lshrrev_b32_e32 v4, 16, v31
	v_cmp_lt_u16_e32 vcc, s95, v42
	v_cmp_gt_f16_e64 s[22:23], v31, v4
	v_cndmask_b32_e64 v4, v31, v4, s[22:23]
	s_and_b64 vcc, s[20:21], vcc
	v_cndmask_b32_e32 v24, v4, v56, vcc
; %bb.1216:                             ;   in Loop: Header=BB6_954 Depth=2
	s_or_b64 exec, exec, s[76:77]
	v_mov_b32_e32 v36, v24
.LBB6_1217:                             ;   in Loop: Header=BB6_954 Depth=2
	s_or_b64 exec, exec, s[24:25]
	v_mov_b32_e32 v20, v36
.LBB6_1218:                             ;   in Loop: Header=BB6_954 Depth=2
	v_and_b32_e32 v4, 0x7fff, v21
	v_and_b32_e32 v36, 0x7fff, v25
	v_cmp_lt_u16_e64 s[20:21], s95, v4
	v_cmp_gt_u16_e64 s[22:23], s31, v36
	s_and_b64 s[76:77], s[20:21], s[22:23]
	v_perm_b32 v31, v25, v21, s35
	s_mov_b64 s[24:25], -1
	s_and_b64 vcc, exec, s[18:19]
	s_xor_b64 s[76:77], s[76:77], -1
                                        ; implicit-def: $vgpr24
	s_cbranch_vccnz .LBB6_1224
; %bb.1219:                             ;   in Loop: Header=BB6_954 Depth=2
	v_mov_b32_e32 v24, v25
	s_and_saveexec_b64 s[78:79], s[76:77]
	s_cbranch_execz .LBB6_1223
; %bb.1220:                             ;   in Loop: Header=BB6_954 Depth=2
	s_or_b64 s[24:25], s[20:21], s[22:23]
	v_mov_b32_e32 v24, v21
	s_and_saveexec_b64 s[88:89], s[24:25]
; %bb.1221:                             ;   in Loop: Header=BB6_954 Depth=2
	v_lshrrev_b32_e32 v4, 16, v31
	v_cmp_lt_u16_e32 vcc, s95, v36
	v_cmp_gt_f16_e64 s[24:25], v31, v4
	v_cndmask_b32_e64 v4, v4, v31, s[24:25]
	s_and_b64 vcc, s[20:21], vcc
	v_cndmask_b32_e32 v24, v4, v56, vcc
; %bb.1222:                             ;   in Loop: Header=BB6_954 Depth=2
	s_or_b64 exec, exec, s[88:89]
.LBB6_1223:                             ;   in Loop: Header=BB6_954 Depth=2
	s_or_b64 exec, exec, s[78:79]
	s_mov_b64 s[24:25], 0
.LBB6_1224:                             ;   in Loop: Header=BB6_954 Depth=2
	s_andn2_b64 vcc, exec, s[24:25]
	s_cbranch_vccnz .LBB6_1230
; %bb.1225:                             ;   in Loop: Header=BB6_954 Depth=2
	v_mov_b32_e32 v24, v25
	s_and_saveexec_b64 s[24:25], s[76:77]
	s_cbranch_execz .LBB6_1229
; %bb.1226:                             ;   in Loop: Header=BB6_954 Depth=2
	s_or_b64 s[22:23], s[20:21], s[22:23]
	v_mov_b32_e32 v24, v21
	s_and_saveexec_b64 s[76:77], s[22:23]
; %bb.1227:                             ;   in Loop: Header=BB6_954 Depth=2
	v_lshrrev_b32_e32 v4, 16, v31
	v_cmp_lt_u16_e32 vcc, s95, v36
	v_cmp_gt_f16_e64 s[22:23], v31, v4
	v_cndmask_b32_e64 v4, v31, v4, s[22:23]
	s_and_b64 vcc, s[20:21], vcc
	v_cndmask_b32_e32 v24, v4, v56, vcc
; %bb.1228:                             ;   in Loop: Header=BB6_954 Depth=2
	s_or_b64 exec, exec, s[76:77]
.LBB6_1229:                             ;   in Loop: Header=BB6_954 Depth=2
	s_or_b64 exec, exec, s[24:25]
.LBB6_1230:                             ;   in Loop: Header=BB6_954 Depth=2
	v_lshrrev_b32_e32 v31, 16, v21
	v_lshrrev_b32_e32 v36, 16, v25
	v_and_b32_e32 v4, 0x7fff, v31
	v_and_b32_e32 v42, 0x7fff, v36
	v_cmp_lt_u16_e64 s[20:21], s95, v4
	v_cmp_gt_u16_e64 s[22:23], s31, v42
	s_and_b64 s[76:77], s[20:21], s[22:23]
	v_perm_b32 v25, v25, v21, s34
	s_mov_b64 s[24:25], -1
	s_and_b64 vcc, exec, s[18:19]
	s_xor_b64 s[76:77], s[76:77], -1
                                        ; implicit-def: $vgpr21
	s_cbranch_vccnz .LBB6_1236
; %bb.1231:                             ;   in Loop: Header=BB6_954 Depth=2
	v_mov_b32_e32 v21, v36
	s_and_saveexec_b64 s[78:79], s[76:77]
	s_cbranch_execz .LBB6_1235
; %bb.1232:                             ;   in Loop: Header=BB6_954 Depth=2
	s_or_b64 s[24:25], s[20:21], s[22:23]
	v_mov_b32_e32 v21, v31
	s_and_saveexec_b64 s[88:89], s[24:25]
; %bb.1233:                             ;   in Loop: Header=BB6_954 Depth=2
	v_lshrrev_b32_e32 v4, 16, v25
	v_cmp_lt_u16_e32 vcc, s95, v42
	v_cmp_gt_f16_e64 s[24:25], v25, v4
	v_cndmask_b32_e64 v4, v4, v25, s[24:25]
	s_and_b64 vcc, s[20:21], vcc
	v_cndmask_b32_e32 v21, v4, v56, vcc
; %bb.1234:                             ;   in Loop: Header=BB6_954 Depth=2
	s_or_b64 exec, exec, s[88:89]
.LBB6_1235:                             ;   in Loop: Header=BB6_954 Depth=2
	s_or_b64 exec, exec, s[78:79]
	s_mov_b64 s[24:25], 0
.LBB6_1236:                             ;   in Loop: Header=BB6_954 Depth=2
	s_andn2_b64 vcc, exec, s[24:25]
	s_cbranch_vccnz .LBB6_1242
; %bb.1237:                             ;   in Loop: Header=BB6_954 Depth=2
	s_and_saveexec_b64 s[24:25], s[76:77]
	s_cbranch_execz .LBB6_1241
; %bb.1238:                             ;   in Loop: Header=BB6_954 Depth=2
	s_or_b64 s[22:23], s[20:21], s[22:23]
	s_and_saveexec_b64 s[76:77], s[22:23]
; %bb.1239:                             ;   in Loop: Header=BB6_954 Depth=2
	v_lshrrev_b32_e32 v4, 16, v25
	v_cmp_lt_u16_e32 vcc, s95, v42
	v_cmp_gt_f16_e64 s[22:23], v25, v4
	v_cndmask_b32_e64 v4, v25, v4, s[22:23]
	s_and_b64 vcc, s[20:21], vcc
	v_cndmask_b32_e32 v31, v4, v56, vcc
; %bb.1240:                             ;   in Loop: Header=BB6_954 Depth=2
	s_or_b64 exec, exec, s[76:77]
	v_mov_b32_e32 v36, v31
.LBB6_1241:                             ;   in Loop: Header=BB6_954 Depth=2
	s_or_b64 exec, exec, s[24:25]
	v_mov_b32_e32 v21, v36
.LBB6_1242:                             ;   in Loop: Header=BB6_954 Depth=2
	v_and_b32_e32 v4, 0x7fff, v10
	s_waitcnt vmcnt(0)
	v_and_b32_e32 v31, 0x7fff, v14
	v_cmp_lt_u16_e64 s[20:21], s95, v4
	v_cmp_gt_u16_e64 s[22:23], s31, v31
	s_and_b64 s[76:77], s[20:21], s[22:23]
	s_mov_b64 s[24:25], -1
	s_and_b64 vcc, exec, s[18:19]
	s_xor_b64 s[76:77], s[76:77], -1
                                        ; implicit-def: $vgpr25
	s_cbranch_vccnz .LBB6_1248
; %bb.1243:                             ;   in Loop: Header=BB6_954 Depth=2
	v_mov_b32_e32 v25, v14
	s_and_saveexec_b64 s[78:79], s[76:77]
	s_cbranch_execz .LBB6_1247
; %bb.1244:                             ;   in Loop: Header=BB6_954 Depth=2
	s_or_b64 s[24:25], s[20:21], s[22:23]
	v_mov_b32_e32 v25, v10
	s_and_saveexec_b64 s[88:89], s[24:25]
; %bb.1245:                             ;   in Loop: Header=BB6_954 Depth=2
	v_cmp_lt_u16_e32 vcc, s95, v31
	v_cmp_gt_f16_e64 s[24:25], v10, v14
	v_cndmask_b32_e64 v4, v14, v10, s[24:25]
	s_and_b64 vcc, s[20:21], vcc
	v_cndmask_b32_e32 v25, v4, v56, vcc
; %bb.1246:                             ;   in Loop: Header=BB6_954 Depth=2
	s_or_b64 exec, exec, s[88:89]
.LBB6_1247:                             ;   in Loop: Header=BB6_954 Depth=2
	s_or_b64 exec, exec, s[78:79]
	s_mov_b64 s[24:25], 0
.LBB6_1248:                             ;   in Loop: Header=BB6_954 Depth=2
	s_andn2_b64 vcc, exec, s[24:25]
	s_cbranch_vccnz .LBB6_1254
; %bb.1249:                             ;   in Loop: Header=BB6_954 Depth=2
	v_mov_b32_e32 v25, v14
	s_and_saveexec_b64 s[24:25], s[76:77]
	s_cbranch_execz .LBB6_1253
; %bb.1250:                             ;   in Loop: Header=BB6_954 Depth=2
	s_or_b64 s[22:23], s[20:21], s[22:23]
	v_mov_b32_e32 v25, v10
	s_and_saveexec_b64 s[76:77], s[22:23]
; %bb.1251:                             ;   in Loop: Header=BB6_954 Depth=2
	v_cmp_lt_u16_e32 vcc, s95, v31
	v_cmp_gt_f16_e64 s[22:23], v10, v14
	v_cndmask_b32_e64 v4, v10, v14, s[22:23]
	s_and_b64 vcc, s[20:21], vcc
	v_cndmask_b32_e32 v25, v4, v56, vcc
; %bb.1252:                             ;   in Loop: Header=BB6_954 Depth=2
	s_or_b64 exec, exec, s[76:77]
.LBB6_1253:                             ;   in Loop: Header=BB6_954 Depth=2
	s_or_b64 exec, exec, s[24:25]
.LBB6_1254:                             ;   in Loop: Header=BB6_954 Depth=2
	v_perm_b32 v31, v14, v10, s34
	v_lshrrev_b32_e32 v36, 16, v14
	v_lshrrev_b32_e32 v14, 16, v10
	v_and_b32_e32 v4, 0x7fff, v14
	v_and_b32_e32 v42, 0x7fff, v36
	v_cmp_lt_u16_e64 s[20:21], s95, v4
	v_cmp_gt_u16_e64 s[22:23], s31, v42
	s_and_b64 s[76:77], s[20:21], s[22:23]
	s_mov_b64 s[24:25], -1
	s_and_b64 vcc, exec, s[18:19]
	s_xor_b64 s[76:77], s[76:77], -1
                                        ; implicit-def: $vgpr10
	s_cbranch_vccnz .LBB6_1260
; %bb.1255:                             ;   in Loop: Header=BB6_954 Depth=2
	v_mov_b32_e32 v10, v36
	s_and_saveexec_b64 s[78:79], s[76:77]
	s_cbranch_execz .LBB6_1259
; %bb.1256:                             ;   in Loop: Header=BB6_954 Depth=2
	s_or_b64 s[24:25], s[20:21], s[22:23]
	v_mov_b32_e32 v10, v14
	s_and_saveexec_b64 s[88:89], s[24:25]
; %bb.1257:                             ;   in Loop: Header=BB6_954 Depth=2
	v_lshrrev_b32_e32 v4, 16, v31
	v_cmp_lt_u16_e32 vcc, s95, v42
	v_cmp_gt_f16_e64 s[24:25], v31, v4
	v_cndmask_b32_e64 v4, v4, v31, s[24:25]
	s_and_b64 vcc, s[20:21], vcc
	v_cndmask_b32_e32 v10, v4, v56, vcc
; %bb.1258:                             ;   in Loop: Header=BB6_954 Depth=2
	s_or_b64 exec, exec, s[88:89]
.LBB6_1259:                             ;   in Loop: Header=BB6_954 Depth=2
	s_or_b64 exec, exec, s[78:79]
	s_mov_b64 s[24:25], 0
.LBB6_1260:                             ;   in Loop: Header=BB6_954 Depth=2
	s_andn2_b64 vcc, exec, s[24:25]
	s_cbranch_vccnz .LBB6_1266
; %bb.1261:                             ;   in Loop: Header=BB6_954 Depth=2
	s_and_saveexec_b64 s[24:25], s[76:77]
	s_cbranch_execz .LBB6_1265
; %bb.1262:                             ;   in Loop: Header=BB6_954 Depth=2
	s_or_b64 s[22:23], s[20:21], s[22:23]
	s_and_saveexec_b64 s[76:77], s[22:23]
; %bb.1263:                             ;   in Loop: Header=BB6_954 Depth=2
	v_lshrrev_b32_e32 v4, 16, v31
	v_cmp_lt_u16_e32 vcc, s95, v42
	v_cmp_gt_f16_e64 s[22:23], v31, v4
	v_cndmask_b32_e64 v4, v31, v4, s[22:23]
	s_and_b64 vcc, s[20:21], vcc
	v_cndmask_b32_e32 v14, v4, v56, vcc
; %bb.1264:                             ;   in Loop: Header=BB6_954 Depth=2
	s_or_b64 exec, exec, s[76:77]
	v_mov_b32_e32 v36, v14
.LBB6_1265:                             ;   in Loop: Header=BB6_954 Depth=2
	s_or_b64 exec, exec, s[24:25]
	v_mov_b32_e32 v10, v36
.LBB6_1266:                             ;   in Loop: Header=BB6_954 Depth=2
	v_and_b32_e32 v4, 0x7fff, v11
	v_and_b32_e32 v36, 0x7fff, v15
	v_cmp_lt_u16_e64 s[20:21], s95, v4
	v_cmp_gt_u16_e64 s[22:23], s31, v36
	s_and_b64 s[76:77], s[20:21], s[22:23]
	v_perm_b32 v31, v15, v11, s35
	s_mov_b64 s[24:25], -1
	s_and_b64 vcc, exec, s[18:19]
	s_xor_b64 s[76:77], s[76:77], -1
                                        ; implicit-def: $vgpr14
	s_cbranch_vccnz .LBB6_1272
; %bb.1267:                             ;   in Loop: Header=BB6_954 Depth=2
	v_mov_b32_e32 v14, v15
	s_and_saveexec_b64 s[78:79], s[76:77]
	s_cbranch_execz .LBB6_1271
; %bb.1268:                             ;   in Loop: Header=BB6_954 Depth=2
	s_or_b64 s[24:25], s[20:21], s[22:23]
	v_mov_b32_e32 v14, v11
	s_and_saveexec_b64 s[88:89], s[24:25]
; %bb.1269:                             ;   in Loop: Header=BB6_954 Depth=2
	v_lshrrev_b32_e32 v4, 16, v31
	v_cmp_lt_u16_e32 vcc, s95, v36
	v_cmp_gt_f16_e64 s[24:25], v31, v4
	v_cndmask_b32_e64 v4, v4, v31, s[24:25]
	s_and_b64 vcc, s[20:21], vcc
	v_cndmask_b32_e32 v14, v4, v56, vcc
; %bb.1270:                             ;   in Loop: Header=BB6_954 Depth=2
	s_or_b64 exec, exec, s[88:89]
.LBB6_1271:                             ;   in Loop: Header=BB6_954 Depth=2
	s_or_b64 exec, exec, s[78:79]
	s_mov_b64 s[24:25], 0
.LBB6_1272:                             ;   in Loop: Header=BB6_954 Depth=2
	s_andn2_b64 vcc, exec, s[24:25]
	s_cbranch_vccnz .LBB6_1278
; %bb.1273:                             ;   in Loop: Header=BB6_954 Depth=2
	v_mov_b32_e32 v14, v15
	s_and_saveexec_b64 s[24:25], s[76:77]
	s_cbranch_execz .LBB6_1277
; %bb.1274:                             ;   in Loop: Header=BB6_954 Depth=2
	s_or_b64 s[22:23], s[20:21], s[22:23]
	v_mov_b32_e32 v14, v11
	s_and_saveexec_b64 s[76:77], s[22:23]
; %bb.1275:                             ;   in Loop: Header=BB6_954 Depth=2
	v_lshrrev_b32_e32 v4, 16, v31
	v_cmp_lt_u16_e32 vcc, s95, v36
	v_cmp_gt_f16_e64 s[22:23], v31, v4
	v_cndmask_b32_e64 v4, v31, v4, s[22:23]
	s_and_b64 vcc, s[20:21], vcc
	v_cndmask_b32_e32 v14, v4, v56, vcc
; %bb.1276:                             ;   in Loop: Header=BB6_954 Depth=2
	s_or_b64 exec, exec, s[76:77]
.LBB6_1277:                             ;   in Loop: Header=BB6_954 Depth=2
	s_or_b64 exec, exec, s[24:25]
.LBB6_1278:                             ;   in Loop: Header=BB6_954 Depth=2
	v_lshrrev_b32_e32 v31, 16, v11
	v_lshrrev_b32_e32 v36, 16, v15
	v_and_b32_e32 v4, 0x7fff, v31
	v_and_b32_e32 v42, 0x7fff, v36
	v_cmp_lt_u16_e64 s[20:21], s95, v4
	v_cmp_gt_u16_e64 s[22:23], s31, v42
	s_and_b64 s[76:77], s[20:21], s[22:23]
	v_perm_b32 v15, v15, v11, s34
	s_mov_b64 s[24:25], -1
	s_and_b64 vcc, exec, s[18:19]
	s_xor_b64 s[76:77], s[76:77], -1
                                        ; implicit-def: $vgpr11
	s_cbranch_vccnz .LBB6_1284
; %bb.1279:                             ;   in Loop: Header=BB6_954 Depth=2
	v_mov_b32_e32 v11, v36
	s_and_saveexec_b64 s[78:79], s[76:77]
	s_cbranch_execz .LBB6_1283
; %bb.1280:                             ;   in Loop: Header=BB6_954 Depth=2
	s_or_b64 s[24:25], s[20:21], s[22:23]
	v_mov_b32_e32 v11, v31
	s_and_saveexec_b64 s[88:89], s[24:25]
; %bb.1281:                             ;   in Loop: Header=BB6_954 Depth=2
	v_lshrrev_b32_e32 v4, 16, v15
	v_cmp_lt_u16_e32 vcc, s95, v42
	v_cmp_gt_f16_e64 s[24:25], v15, v4
	v_cndmask_b32_e64 v4, v4, v15, s[24:25]
	s_and_b64 vcc, s[20:21], vcc
	v_cndmask_b32_e32 v11, v4, v56, vcc
; %bb.1282:                             ;   in Loop: Header=BB6_954 Depth=2
	s_or_b64 exec, exec, s[88:89]
.LBB6_1283:                             ;   in Loop: Header=BB6_954 Depth=2
	s_or_b64 exec, exec, s[78:79]
	s_mov_b64 s[24:25], 0
.LBB6_1284:                             ;   in Loop: Header=BB6_954 Depth=2
	s_andn2_b64 vcc, exec, s[24:25]
	s_cbranch_vccnz .LBB6_1290
; %bb.1285:                             ;   in Loop: Header=BB6_954 Depth=2
	s_and_saveexec_b64 s[24:25], s[76:77]
	s_cbranch_execz .LBB6_1289
; %bb.1286:                             ;   in Loop: Header=BB6_954 Depth=2
	s_or_b64 s[22:23], s[20:21], s[22:23]
	s_and_saveexec_b64 s[76:77], s[22:23]
; %bb.1287:                             ;   in Loop: Header=BB6_954 Depth=2
	v_lshrrev_b32_e32 v4, 16, v15
	v_cmp_lt_u16_e32 vcc, s95, v42
	v_cmp_gt_f16_e64 s[22:23], v15, v4
	v_cndmask_b32_e64 v4, v15, v4, s[22:23]
	s_and_b64 vcc, s[20:21], vcc
	v_cndmask_b32_e32 v31, v4, v56, vcc
; %bb.1288:                             ;   in Loop: Header=BB6_954 Depth=2
	s_or_b64 exec, exec, s[76:77]
	v_mov_b32_e32 v36, v31
.LBB6_1289:                             ;   in Loop: Header=BB6_954 Depth=2
	s_or_b64 exec, exec, s[24:25]
	v_mov_b32_e32 v11, v36
.LBB6_1290:                             ;   in Loop: Header=BB6_954 Depth=2
	v_and_b32_e32 v4, 0x7fff, v12
	v_and_b32_e32 v31, 0x7fff, v16
	v_cmp_lt_u16_e64 s[20:21], s95, v4
	v_cmp_gt_u16_e64 s[22:23], s31, v31
	s_and_b64 s[76:77], s[20:21], s[22:23]
	s_mov_b64 s[24:25], -1
	s_and_b64 vcc, exec, s[18:19]
	s_xor_b64 s[76:77], s[76:77], -1
                                        ; implicit-def: $vgpr15
	s_cbranch_vccnz .LBB6_1296
; %bb.1291:                             ;   in Loop: Header=BB6_954 Depth=2
	v_mov_b32_e32 v15, v16
	s_and_saveexec_b64 s[78:79], s[76:77]
	s_cbranch_execz .LBB6_1295
; %bb.1292:                             ;   in Loop: Header=BB6_954 Depth=2
	s_or_b64 s[24:25], s[20:21], s[22:23]
	v_mov_b32_e32 v15, v12
	s_and_saveexec_b64 s[88:89], s[24:25]
; %bb.1293:                             ;   in Loop: Header=BB6_954 Depth=2
	v_cmp_lt_u16_e32 vcc, s95, v31
	v_cmp_gt_f16_e64 s[24:25], v12, v16
	v_cndmask_b32_e64 v4, v16, v12, s[24:25]
	s_and_b64 vcc, s[20:21], vcc
	v_cndmask_b32_e32 v15, v4, v56, vcc
; %bb.1294:                             ;   in Loop: Header=BB6_954 Depth=2
	s_or_b64 exec, exec, s[88:89]
.LBB6_1295:                             ;   in Loop: Header=BB6_954 Depth=2
	s_or_b64 exec, exec, s[78:79]
	s_mov_b64 s[24:25], 0
.LBB6_1296:                             ;   in Loop: Header=BB6_954 Depth=2
	s_andn2_b64 vcc, exec, s[24:25]
	s_cbranch_vccnz .LBB6_1302
; %bb.1297:                             ;   in Loop: Header=BB6_954 Depth=2
	v_mov_b32_e32 v15, v16
	s_and_saveexec_b64 s[24:25], s[76:77]
	s_cbranch_execz .LBB6_1301
; %bb.1298:                             ;   in Loop: Header=BB6_954 Depth=2
	s_or_b64 s[22:23], s[20:21], s[22:23]
	v_mov_b32_e32 v15, v12
	s_and_saveexec_b64 s[76:77], s[22:23]
; %bb.1299:                             ;   in Loop: Header=BB6_954 Depth=2
	v_cmp_lt_u16_e32 vcc, s95, v31
	v_cmp_gt_f16_e64 s[22:23], v12, v16
	v_cndmask_b32_e64 v4, v12, v16, s[22:23]
	s_and_b64 vcc, s[20:21], vcc
	v_cndmask_b32_e32 v15, v4, v56, vcc
; %bb.1300:                             ;   in Loop: Header=BB6_954 Depth=2
	s_or_b64 exec, exec, s[76:77]
.LBB6_1301:                             ;   in Loop: Header=BB6_954 Depth=2
	s_or_b64 exec, exec, s[24:25]
.LBB6_1302:                             ;   in Loop: Header=BB6_954 Depth=2
	v_perm_b32 v31, v16, v12, s34
	v_lshrrev_b32_e32 v36, 16, v16
	v_lshrrev_b32_e32 v16, 16, v12
	v_and_b32_e32 v4, 0x7fff, v16
	v_and_b32_e32 v42, 0x7fff, v36
	v_cmp_lt_u16_e64 s[20:21], s95, v4
	v_cmp_gt_u16_e64 s[22:23], s31, v42
	s_and_b64 s[76:77], s[20:21], s[22:23]
	s_mov_b64 s[24:25], -1
	s_and_b64 vcc, exec, s[18:19]
	s_xor_b64 s[76:77], s[76:77], -1
                                        ; implicit-def: $vgpr12
	s_cbranch_vccnz .LBB6_1308
; %bb.1303:                             ;   in Loop: Header=BB6_954 Depth=2
	v_mov_b32_e32 v12, v36
	s_and_saveexec_b64 s[78:79], s[76:77]
	s_cbranch_execz .LBB6_1307
; %bb.1304:                             ;   in Loop: Header=BB6_954 Depth=2
	s_or_b64 s[24:25], s[20:21], s[22:23]
	v_mov_b32_e32 v12, v16
	s_and_saveexec_b64 s[88:89], s[24:25]
; %bb.1305:                             ;   in Loop: Header=BB6_954 Depth=2
	v_lshrrev_b32_e32 v4, 16, v31
	v_cmp_lt_u16_e32 vcc, s95, v42
	v_cmp_gt_f16_e64 s[24:25], v31, v4
	v_cndmask_b32_e64 v4, v4, v31, s[24:25]
	s_and_b64 vcc, s[20:21], vcc
	v_cndmask_b32_e32 v12, v4, v56, vcc
; %bb.1306:                             ;   in Loop: Header=BB6_954 Depth=2
	s_or_b64 exec, exec, s[88:89]
.LBB6_1307:                             ;   in Loop: Header=BB6_954 Depth=2
	s_or_b64 exec, exec, s[78:79]
	s_mov_b64 s[24:25], 0
.LBB6_1308:                             ;   in Loop: Header=BB6_954 Depth=2
	s_andn2_b64 vcc, exec, s[24:25]
	s_cbranch_vccnz .LBB6_1314
; %bb.1309:                             ;   in Loop: Header=BB6_954 Depth=2
	s_and_saveexec_b64 s[24:25], s[76:77]
	s_cbranch_execz .LBB6_1313
; %bb.1310:                             ;   in Loop: Header=BB6_954 Depth=2
	s_or_b64 s[22:23], s[20:21], s[22:23]
	s_and_saveexec_b64 s[76:77], s[22:23]
; %bb.1311:                             ;   in Loop: Header=BB6_954 Depth=2
	v_lshrrev_b32_e32 v4, 16, v31
	v_cmp_lt_u16_e32 vcc, s95, v42
	v_cmp_gt_f16_e64 s[22:23], v31, v4
	v_cndmask_b32_e64 v4, v31, v4, s[22:23]
	s_and_b64 vcc, s[20:21], vcc
	v_cndmask_b32_e32 v16, v4, v56, vcc
; %bb.1312:                             ;   in Loop: Header=BB6_954 Depth=2
	s_or_b64 exec, exec, s[76:77]
	v_mov_b32_e32 v36, v16
.LBB6_1313:                             ;   in Loop: Header=BB6_954 Depth=2
	s_or_b64 exec, exec, s[24:25]
	v_mov_b32_e32 v12, v36
.LBB6_1314:                             ;   in Loop: Header=BB6_954 Depth=2
	v_and_b32_e32 v4, 0x7fff, v13
	v_and_b32_e32 v36, 0x7fff, v17
	v_cmp_lt_u16_e64 s[20:21], s95, v4
	v_cmp_gt_u16_e64 s[22:23], s31, v36
	s_and_b64 s[76:77], s[20:21], s[22:23]
	v_perm_b32 v31, v17, v13, s35
	s_mov_b64 s[24:25], -1
	s_and_b64 vcc, exec, s[18:19]
	s_xor_b64 s[76:77], s[76:77], -1
                                        ; implicit-def: $vgpr16
	s_cbranch_vccnz .LBB6_1320
; %bb.1315:                             ;   in Loop: Header=BB6_954 Depth=2
	v_mov_b32_e32 v16, v17
	s_and_saveexec_b64 s[78:79], s[76:77]
	s_cbranch_execz .LBB6_1319
; %bb.1316:                             ;   in Loop: Header=BB6_954 Depth=2
	s_or_b64 s[24:25], s[20:21], s[22:23]
	v_mov_b32_e32 v16, v13
	s_and_saveexec_b64 s[88:89], s[24:25]
; %bb.1317:                             ;   in Loop: Header=BB6_954 Depth=2
	v_lshrrev_b32_e32 v4, 16, v31
	v_cmp_lt_u16_e32 vcc, s95, v36
	v_cmp_gt_f16_e64 s[24:25], v31, v4
	v_cndmask_b32_e64 v4, v4, v31, s[24:25]
	s_and_b64 vcc, s[20:21], vcc
	v_cndmask_b32_e32 v16, v4, v56, vcc
; %bb.1318:                             ;   in Loop: Header=BB6_954 Depth=2
	s_or_b64 exec, exec, s[88:89]
.LBB6_1319:                             ;   in Loop: Header=BB6_954 Depth=2
	s_or_b64 exec, exec, s[78:79]
	s_mov_b64 s[24:25], 0
.LBB6_1320:                             ;   in Loop: Header=BB6_954 Depth=2
	s_andn2_b64 vcc, exec, s[24:25]
	s_cbranch_vccnz .LBB6_1326
; %bb.1321:                             ;   in Loop: Header=BB6_954 Depth=2
	v_mov_b32_e32 v16, v17
	s_and_saveexec_b64 s[24:25], s[76:77]
	s_cbranch_execz .LBB6_1325
; %bb.1322:                             ;   in Loop: Header=BB6_954 Depth=2
	s_or_b64 s[22:23], s[20:21], s[22:23]
	v_mov_b32_e32 v16, v13
	s_and_saveexec_b64 s[76:77], s[22:23]
; %bb.1323:                             ;   in Loop: Header=BB6_954 Depth=2
	v_lshrrev_b32_e32 v4, 16, v31
	v_cmp_lt_u16_e32 vcc, s95, v36
	v_cmp_gt_f16_e64 s[22:23], v31, v4
	v_cndmask_b32_e64 v4, v31, v4, s[22:23]
	s_and_b64 vcc, s[20:21], vcc
	v_cndmask_b32_e32 v16, v4, v56, vcc
; %bb.1324:                             ;   in Loop: Header=BB6_954 Depth=2
	s_or_b64 exec, exec, s[76:77]
.LBB6_1325:                             ;   in Loop: Header=BB6_954 Depth=2
	s_or_b64 exec, exec, s[24:25]
.LBB6_1326:                             ;   in Loop: Header=BB6_954 Depth=2
	v_lshrrev_b32_e32 v31, 16, v13
	v_lshrrev_b32_e32 v36, 16, v17
	v_and_b32_e32 v4, 0x7fff, v31
	v_and_b32_e32 v42, 0x7fff, v36
	v_cmp_lt_u16_e64 s[20:21], s95, v4
	v_cmp_gt_u16_e64 s[22:23], s31, v42
	s_and_b64 s[24:25], s[20:21], s[22:23]
	v_perm_b32 v17, v17, v13, s34
	s_mov_b64 s[76:77], -1
	s_and_b64 vcc, exec, s[18:19]
	s_xor_b64 s[24:25], s[24:25], -1
                                        ; implicit-def: $vgpr13
	s_cbranch_vccnz .LBB6_1332
; %bb.1327:                             ;   in Loop: Header=BB6_954 Depth=2
	v_mov_b32_e32 v13, v36
	s_and_saveexec_b64 s[76:77], s[24:25]
	s_cbranch_execz .LBB6_1331
; %bb.1328:                             ;   in Loop: Header=BB6_954 Depth=2
	s_or_b64 s[18:19], s[20:21], s[22:23]
	v_mov_b32_e32 v13, v31
	s_and_saveexec_b64 s[78:79], s[18:19]
; %bb.1329:                             ;   in Loop: Header=BB6_954 Depth=2
	v_lshrrev_b32_e32 v4, 16, v17
	v_cmp_lt_u16_e32 vcc, s95, v42
	v_cmp_gt_f16_e64 s[18:19], v17, v4
	v_cndmask_b32_e64 v4, v4, v17, s[18:19]
	s_and_b64 vcc, s[20:21], vcc
	v_cndmask_b32_e32 v13, v4, v56, vcc
; %bb.1330:                             ;   in Loop: Header=BB6_954 Depth=2
	s_or_b64 exec, exec, s[78:79]
.LBB6_1331:                             ;   in Loop: Header=BB6_954 Depth=2
	s_or_b64 exec, exec, s[76:77]
	s_mov_b64 s[76:77], 0
.LBB6_1332:                             ;   in Loop: Header=BB6_954 Depth=2
	s_andn2_b64 vcc, exec, s[76:77]
	s_cbranch_vccnz .LBB6_953
; %bb.1333:                             ;   in Loop: Header=BB6_954 Depth=2
	s_and_saveexec_b64 s[76:77], s[24:25]
	s_cbranch_execz .LBB6_952
; %bb.1334:                             ;   in Loop: Header=BB6_954 Depth=2
	s_or_b64 s[18:19], s[20:21], s[22:23]
	s_and_saveexec_b64 s[22:23], s[18:19]
	s_cbranch_execz .LBB6_951
; %bb.1335:                             ;   in Loop: Header=BB6_954 Depth=2
	v_lshrrev_b32_e32 v4, 16, v17
	v_cmp_lt_u16_e32 vcc, s95, v42
	v_cmp_gt_f16_e64 s[18:19], v17, v4
	v_cndmask_b32_e64 v4, v17, v4, s[18:19]
	s_and_b64 vcc, s[20:21], vcc
	v_cndmask_b32_e32 v31, v4, v56, vcc
	s_branch .LBB6_951
.LBB6_1336:                             ;   in Loop: Header=BB6_877 Depth=1
	s_or_b64 exec, exec, s[72:73]
	buffer_load_dword v43, off, s[0:3], s33 offset:140 ; 4-byte Folded Reload
	buffer_load_dword v36, off, s[0:3], s33 offset:112 ; 4-byte Folded Reload
	;; [unrolled: 1-line block ×31, first 2 shown]
.LBB6_1337:                             ;   in Loop: Header=BB6_877 Depth=1
	s_or_b64 exec, exec, s[62:63]
	s_waitcnt vmcnt(0)
	v_lshlrev_b32_e32 v20, 12, v1
	v_cmp_ne_u32_e32 vcc, v31, v20
	s_mov_b64 s[18:19], 0
	v_mov_b32_e32 v4, 0
                                        ; implicit-def: $vgpr2
	s_and_saveexec_b64 s[62:63], vcc
	s_cbranch_execz .LBB6_1407
; %bb.1338:                             ;   in Loop: Header=BB6_877 Depth=1
	buffer_load_dword v2, off, s[0:3], s33 offset:228 ; 4-byte Folded Reload
	v_lshlrev_b32_e32 v0, 6, v0
	v_sub_u32_e32 v1, v31, v20
	v_mov_b32_e32 v29, v23
	v_mov_b32_e32 v28, v22
	s_waitcnt vmcnt(0)
	v_sub_u32_e32 v0, v2, v0
	v_ashrrev_i32_e32 v2, 31, v0
	v_lshrrev_b32_e32 v2, 26, v2
	v_add_u32_e32 v2, v0, v2
	v_ashrrev_i32_e32 v3, 6, v2
	v_and_b32_e32 v2, 0xffffffc0, v2
	v_sub_u32_e32 v21, v0, v2
	v_ashrrev_i32_e32 v2, 31, v1
	v_lshrrev_b32_e32 v2, 22, v2
	v_add_u32_e32 v2, v1, v2
	v_and_b32_e32 v22, 0xfffffc00, v2
	v_lshlrev_b32_e32 v0, 4, v21
	v_sub_u32_e32 v23, v1, v22
	v_lshl_add_u32 v0, v3, 10, v0
	v_ashrrev_i32_e32 v4, 10, v2
	v_cmp_lt_i32_e64 s[18:19], 15, v23
	v_sub_u32_e32 v25, v1, v0
	v_addc_co_u32_e64 v1, vcc, 0, v4, s[18:19]
	v_sub_u32_e32 v24, v1, v3
	v_cmp_lt_i32_e32 vcc, 15, v25
	s_and_saveexec_b64 s[72:73], vcc
	s_cbranch_execz .LBB6_1406
; %bb.1339:                             ;   in Loop: Header=BB6_877 Depth=1
	v_add_u32_e32 v4, v0, v20
	s_trap 2
	ds_read_b64 v[2:3], v0
	v_add_co_u32_e32 v0, vcc, v4, v6
	buffer_store_dword v6, off, s[0:3], s33 offset:64 ; 4-byte Folded Spill
	s_nop 0
	buffer_store_dword v7, off, s[0:3], s33 offset:68 ; 4-byte Folded Spill
	v_ashrrev_i32_e32 v5, 31, v4
	v_mov_b32_e32 v45, v11
	s_bitcmp1_b32 s92, 0
	v_mov_b32_e32 v44, v10
	s_mov_b64 s[74:75], 0
	s_cselect_b64 s[76:77], -1, 0
	v_addc_co_u32_e32 v1, vcc, v5, v7, vcc
	s_waitcnt lgkmcnt(0)
	v_add_co_u32_e32 v2, vcc, v2, v4
	v_addc_co_u32_e32 v3, vcc, v3, v5, vcc
	v_add_co_u32_e32 v18, vcc, v4, v10
	v_addc_co_u32_e32 v19, vcc, v5, v11, vcc
	s_branch .LBB6_1342
.LBB6_1340:                             ;   in Loop: Header=BB6_1342 Depth=2
	s_or_b64 exec, exec, s[88:89]
	v_mov_b32_e32 v17, v13
.LBB6_1341:                             ;   in Loop: Header=BB6_1342 Depth=2
	v_lshlrev_b32_e32 v6, 16, v10
	v_and_b32_e32 v7, 0xffff, v26
	v_lshlrev_b32_e32 v4, 16, v11
	v_and_b32_e32 v5, 0xffff, v14
	v_or_b32_e32 v6, v6, v7
	v_add_co_u32_e32 v0, vcc, v0, v35
	v_or3_b32 v5, v4, v5, 0
	v_or3_b32 v4, 0, 0, v6
	v_lshlrev_b32_e32 v6, 16, v12
	v_and_b32_e32 v7, 0xffff, v15
	v_addc_co_u32_e32 v1, vcc, 0, v1, vcc
	v_or_b32_e32 v6, v6, v7
	v_lshlrev_b32_e32 v7, 16, v17
	v_and_b32_e32 v8, 0xffff, v16
	v_add_co_u32_e32 v2, vcc, v2, v35
	v_or3_b32 v7, v7, v8, 0
	v_or3_b32 v6, 0, 0, v6
	v_addc_co_u32_e32 v3, vcc, 0, v3, vcc
	global_store_dwordx4 v[18:19], v[4:7], off glc slc
	v_add_co_u32_e32 v18, vcc, v18, v35
	v_addc_co_u32_e32 v19, vcc, 0, v19, vcc
	v_sub_u32_e32 v25, v25, v35
	v_cmp_gt_i32_e32 vcc, 16, v25
	s_or_b64 s[74:75], vcc, s[74:75]
	v_sub_u32_e32 v24, v24, v55
	s_andn2_b64 exec, exec, s[74:75]
	s_cbranch_execz .LBB6_1405
.LBB6_1342:                             ;   Parent Loop BB6_877 Depth=1
                                        ; =>  This Inner Loop Header: Depth=2
	global_load_dwordx4 v[10:13], v[0:1], off glc slc
	global_load_dwordx4 v[14:17], v[2:3], off glc slc
	s_mov_b64 s[88:89], -1
	s_and_b64 vcc, exec, s[76:77]
                                        ; implicit-def: $vgpr26
	s_waitcnt vmcnt(0)
	v_and_b32_e32 v4, 0x7fff, v14
	v_cmp_gt_u16_e64 s[20:21], s31, v4
	v_cmp_lt_u16_e64 s[22:23], s95, v4
	v_and_b32_e32 v4, 0x7fff, v10
	v_cmp_lt_u16_e64 s[24:25], s95, v4
	s_and_b64 s[78:79], s[24:25], s[20:21]
	s_xor_b64 s[78:79], s[78:79], -1
	s_cbranch_vccz .LBB6_1346
; %bb.1343:                             ;   in Loop: Header=BB6_1342 Depth=2
	v_mov_b32_e32 v26, v14
	s_and_saveexec_b64 s[88:89], s[78:79]
; %bb.1344:                             ;   in Loop: Header=BB6_1342 Depth=2
	v_cmp_gt_f16_e32 vcc, v10, v14
	v_cndmask_b32_e32 v4, v14, v10, vcc
	s_and_b64 vcc, s[24:25], s[22:23]
	v_cndmask_b32_e32 v4, v4, v56, vcc
	s_or_b64 vcc, s[24:25], s[20:21]
	v_cndmask_b32_e32 v26, v10, v4, vcc
; %bb.1345:                             ;   in Loop: Header=BB6_1342 Depth=2
	s_or_b64 exec, exec, s[88:89]
	s_mov_b64 s[88:89], 0
.LBB6_1346:                             ;   in Loop: Header=BB6_1342 Depth=2
	s_andn2_b64 vcc, exec, s[88:89]
	s_cbranch_vccnz .LBB6_1350
; %bb.1347:                             ;   in Loop: Header=BB6_1342 Depth=2
	v_mov_b32_e32 v26, v14
	s_and_saveexec_b64 s[88:89], s[78:79]
; %bb.1348:                             ;   in Loop: Header=BB6_1342 Depth=2
	v_cmp_gt_f16_e32 vcc, v10, v14
	v_cndmask_b32_e32 v4, v10, v14, vcc
	s_and_b64 vcc, s[24:25], s[22:23]
	v_cndmask_b32_e32 v4, v4, v56, vcc
	s_or_b64 vcc, s[24:25], s[20:21]
	v_cndmask_b32_e32 v26, v10, v4, vcc
; %bb.1349:                             ;   in Loop: Header=BB6_1342 Depth=2
	s_or_b64 exec, exec, s[88:89]
.LBB6_1350:                             ;   in Loop: Header=BB6_1342 Depth=2
	v_lshrrev_b32_e32 v14, 16, v14
	v_and_b32_e32 v4, 0x7fff, v14
	v_lshrrev_b32_e32 v27, 16, v10
	v_cmp_gt_u16_e64 s[20:21], s31, v4
	v_cmp_lt_u16_e64 s[22:23], s95, v4
	v_and_b32_e32 v4, 0x7fff, v27
	v_cmp_lt_u16_e64 s[24:25], s95, v4
	s_and_b64 s[78:79], s[24:25], s[20:21]
	s_mov_b64 s[88:89], -1
	s_xor_b64 s[78:79], s[78:79], -1
	s_and_b64 vcc, exec, s[76:77]
                                        ; implicit-def: $vgpr10
	s_cbranch_vccz .LBB6_1354
; %bb.1351:                             ;   in Loop: Header=BB6_1342 Depth=2
	v_mov_b32_e32 v10, v14
	s_and_saveexec_b64 s[88:89], s[78:79]
; %bb.1352:                             ;   in Loop: Header=BB6_1342 Depth=2
	v_cmp_gt_f16_e32 vcc, v27, v14
	v_cndmask_b32_e32 v4, v14, v27, vcc
	s_and_b64 vcc, s[24:25], s[22:23]
	v_cndmask_b32_e32 v4, v4, v56, vcc
	s_or_b64 vcc, s[24:25], s[20:21]
	v_cndmask_b32_e32 v10, v27, v4, vcc
; %bb.1353:                             ;   in Loop: Header=BB6_1342 Depth=2
	s_or_b64 exec, exec, s[88:89]
	s_mov_b64 s[88:89], 0
.LBB6_1354:                             ;   in Loop: Header=BB6_1342 Depth=2
	s_andn2_b64 vcc, exec, s[88:89]
	s_cbranch_vccnz .LBB6_1358
; %bb.1355:                             ;   in Loop: Header=BB6_1342 Depth=2
	s_and_saveexec_b64 s[88:89], s[78:79]
; %bb.1356:                             ;   in Loop: Header=BB6_1342 Depth=2
	v_cmp_gt_f16_e32 vcc, v27, v14
	v_cndmask_b32_e32 v4, v27, v14, vcc
	s_and_b64 vcc, s[24:25], s[22:23]
	v_cndmask_b32_e32 v4, v4, v56, vcc
	s_or_b64 vcc, s[24:25], s[20:21]
	v_cndmask_b32_e32 v14, v27, v4, vcc
; %bb.1357:                             ;   in Loop: Header=BB6_1342 Depth=2
	s_or_b64 exec, exec, s[88:89]
	v_mov_b32_e32 v10, v14
.LBB6_1358:                             ;   in Loop: Header=BB6_1342 Depth=2
	v_and_b32_e32 v4, 0x7fff, v15
	v_cmp_gt_u16_e64 s[20:21], s31, v4
	v_cmp_lt_u16_e64 s[22:23], s95, v4
	v_and_b32_e32 v4, 0x7fff, v11
	v_cmp_lt_u16_e64 s[24:25], s95, v4
	s_and_b64 s[78:79], s[24:25], s[20:21]
	s_mov_b64 s[88:89], -1
	s_xor_b64 s[78:79], s[78:79], -1
	s_and_b64 vcc, exec, s[76:77]
                                        ; implicit-def: $vgpr14
	s_cbranch_vccz .LBB6_1362
; %bb.1359:                             ;   in Loop: Header=BB6_1342 Depth=2
	v_mov_b32_e32 v14, v15
	s_and_saveexec_b64 s[88:89], s[78:79]
; %bb.1360:                             ;   in Loop: Header=BB6_1342 Depth=2
	v_cmp_gt_f16_e32 vcc, v11, v15
	v_cndmask_b32_e32 v4, v15, v11, vcc
	s_and_b64 vcc, s[24:25], s[22:23]
	v_cndmask_b32_e32 v4, v4, v56, vcc
	s_or_b64 vcc, s[24:25], s[20:21]
	v_cndmask_b32_e32 v14, v11, v4, vcc
; %bb.1361:                             ;   in Loop: Header=BB6_1342 Depth=2
	s_or_b64 exec, exec, s[88:89]
	s_mov_b64 s[88:89], 0
.LBB6_1362:                             ;   in Loop: Header=BB6_1342 Depth=2
	s_andn2_b64 vcc, exec, s[88:89]
	s_cbranch_vccnz .LBB6_1366
; %bb.1363:                             ;   in Loop: Header=BB6_1342 Depth=2
	v_mov_b32_e32 v14, v15
	s_and_saveexec_b64 s[88:89], s[78:79]
; %bb.1364:                             ;   in Loop: Header=BB6_1342 Depth=2
	v_cmp_gt_f16_e32 vcc, v11, v15
	v_cndmask_b32_e32 v4, v11, v15, vcc
	s_and_b64 vcc, s[24:25], s[22:23]
	v_cndmask_b32_e32 v4, v4, v56, vcc
	s_or_b64 vcc, s[24:25], s[20:21]
	v_cndmask_b32_e32 v14, v11, v4, vcc
; %bb.1365:                             ;   in Loop: Header=BB6_1342 Depth=2
	s_or_b64 exec, exec, s[88:89]
.LBB6_1366:                             ;   in Loop: Header=BB6_1342 Depth=2
	v_lshrrev_b32_e32 v15, 16, v15
	v_lshrrev_b32_e32 v27, 16, v11
	v_and_b32_e32 v4, 0x7fff, v15
	v_cmp_gt_u16_e64 s[20:21], s31, v4
	v_cmp_lt_u16_e64 s[22:23], s95, v4
	v_and_b32_e32 v4, 0x7fff, v27
	v_cmp_lt_u16_e64 s[24:25], s95, v4
	s_and_b64 s[78:79], s[24:25], s[20:21]
	s_mov_b64 s[88:89], -1
	s_xor_b64 s[78:79], s[78:79], -1
	s_and_b64 vcc, exec, s[76:77]
                                        ; implicit-def: $vgpr11
	s_cbranch_vccz .LBB6_1370
; %bb.1367:                             ;   in Loop: Header=BB6_1342 Depth=2
	v_mov_b32_e32 v11, v15
	s_and_saveexec_b64 s[88:89], s[78:79]
; %bb.1368:                             ;   in Loop: Header=BB6_1342 Depth=2
	v_cmp_gt_f16_e32 vcc, v27, v15
	v_cndmask_b32_e32 v4, v15, v27, vcc
	s_and_b64 vcc, s[24:25], s[22:23]
	v_cndmask_b32_e32 v4, v4, v56, vcc
	s_or_b64 vcc, s[24:25], s[20:21]
	v_cndmask_b32_e32 v11, v27, v4, vcc
; %bb.1369:                             ;   in Loop: Header=BB6_1342 Depth=2
	s_or_b64 exec, exec, s[88:89]
	s_mov_b64 s[88:89], 0
.LBB6_1370:                             ;   in Loop: Header=BB6_1342 Depth=2
	s_andn2_b64 vcc, exec, s[88:89]
	s_cbranch_vccnz .LBB6_1374
; %bb.1371:                             ;   in Loop: Header=BB6_1342 Depth=2
	s_and_saveexec_b64 s[88:89], s[78:79]
; %bb.1372:                             ;   in Loop: Header=BB6_1342 Depth=2
	v_cmp_gt_f16_e32 vcc, v27, v15
	v_cndmask_b32_e32 v4, v27, v15, vcc
	s_and_b64 vcc, s[24:25], s[22:23]
	v_cndmask_b32_e32 v4, v4, v56, vcc
	s_or_b64 vcc, s[24:25], s[20:21]
	v_cndmask_b32_e32 v15, v27, v4, vcc
; %bb.1373:                             ;   in Loop: Header=BB6_1342 Depth=2
	s_or_b64 exec, exec, s[88:89]
	v_mov_b32_e32 v11, v15
.LBB6_1374:                             ;   in Loop: Header=BB6_1342 Depth=2
	v_and_b32_e32 v4, 0x7fff, v16
	v_cmp_gt_u16_e64 s[20:21], s31, v4
	v_cmp_lt_u16_e64 s[22:23], s95, v4
	v_and_b32_e32 v4, 0x7fff, v12
	v_cmp_lt_u16_e64 s[24:25], s95, v4
	s_and_b64 s[78:79], s[24:25], s[20:21]
	s_mov_b64 s[88:89], -1
	s_xor_b64 s[78:79], s[78:79], -1
	s_and_b64 vcc, exec, s[76:77]
                                        ; implicit-def: $vgpr15
	s_cbranch_vccz .LBB6_1378
; %bb.1375:                             ;   in Loop: Header=BB6_1342 Depth=2
	v_mov_b32_e32 v15, v16
	s_and_saveexec_b64 s[88:89], s[78:79]
; %bb.1376:                             ;   in Loop: Header=BB6_1342 Depth=2
	v_cmp_gt_f16_e32 vcc, v12, v16
	v_cndmask_b32_e32 v4, v16, v12, vcc
	s_and_b64 vcc, s[24:25], s[22:23]
	v_cndmask_b32_e32 v4, v4, v56, vcc
	s_or_b64 vcc, s[24:25], s[20:21]
	v_cndmask_b32_e32 v15, v12, v4, vcc
; %bb.1377:                             ;   in Loop: Header=BB6_1342 Depth=2
	s_or_b64 exec, exec, s[88:89]
	s_mov_b64 s[88:89], 0
.LBB6_1378:                             ;   in Loop: Header=BB6_1342 Depth=2
	s_andn2_b64 vcc, exec, s[88:89]
	s_cbranch_vccnz .LBB6_1382
; %bb.1379:                             ;   in Loop: Header=BB6_1342 Depth=2
	v_mov_b32_e32 v15, v16
	s_and_saveexec_b64 s[88:89], s[78:79]
; %bb.1380:                             ;   in Loop: Header=BB6_1342 Depth=2
	v_cmp_gt_f16_e32 vcc, v12, v16
	v_cndmask_b32_e32 v4, v12, v16, vcc
	s_and_b64 vcc, s[24:25], s[22:23]
	v_cndmask_b32_e32 v4, v4, v56, vcc
	s_or_b64 vcc, s[24:25], s[20:21]
	v_cndmask_b32_e32 v15, v12, v4, vcc
; %bb.1381:                             ;   in Loop: Header=BB6_1342 Depth=2
	s_or_b64 exec, exec, s[88:89]
.LBB6_1382:                             ;   in Loop: Header=BB6_1342 Depth=2
	v_lshrrev_b32_e32 v16, 16, v16
	v_lshrrev_b32_e32 v27, 16, v12
	v_and_b32_e32 v4, 0x7fff, v16
	v_cmp_gt_u16_e64 s[20:21], s31, v4
	v_cmp_lt_u16_e64 s[22:23], s95, v4
	v_and_b32_e32 v4, 0x7fff, v27
	v_cmp_lt_u16_e64 s[24:25], s95, v4
	s_and_b64 s[78:79], s[24:25], s[20:21]
	s_mov_b64 s[88:89], -1
	s_xor_b64 s[78:79], s[78:79], -1
	s_and_b64 vcc, exec, s[76:77]
                                        ; implicit-def: $vgpr12
	s_cbranch_vccz .LBB6_1386
; %bb.1383:                             ;   in Loop: Header=BB6_1342 Depth=2
	v_mov_b32_e32 v12, v16
	s_and_saveexec_b64 s[88:89], s[78:79]
; %bb.1384:                             ;   in Loop: Header=BB6_1342 Depth=2
	v_cmp_gt_f16_e32 vcc, v27, v16
	v_cndmask_b32_e32 v4, v16, v27, vcc
	s_and_b64 vcc, s[24:25], s[22:23]
	v_cndmask_b32_e32 v4, v4, v56, vcc
	s_or_b64 vcc, s[24:25], s[20:21]
	v_cndmask_b32_e32 v12, v27, v4, vcc
; %bb.1385:                             ;   in Loop: Header=BB6_1342 Depth=2
	s_or_b64 exec, exec, s[88:89]
	s_mov_b64 s[88:89], 0
.LBB6_1386:                             ;   in Loop: Header=BB6_1342 Depth=2
	s_andn2_b64 vcc, exec, s[88:89]
	s_cbranch_vccnz .LBB6_1390
; %bb.1387:                             ;   in Loop: Header=BB6_1342 Depth=2
	s_and_saveexec_b64 s[88:89], s[78:79]
; %bb.1388:                             ;   in Loop: Header=BB6_1342 Depth=2
	v_cmp_gt_f16_e32 vcc, v27, v16
	v_cndmask_b32_e32 v4, v27, v16, vcc
	s_and_b64 vcc, s[24:25], s[22:23]
	v_cndmask_b32_e32 v4, v4, v56, vcc
	s_or_b64 vcc, s[24:25], s[20:21]
	v_cndmask_b32_e32 v16, v27, v4, vcc
; %bb.1389:                             ;   in Loop: Header=BB6_1342 Depth=2
	s_or_b64 exec, exec, s[88:89]
	v_mov_b32_e32 v12, v16
.LBB6_1390:                             ;   in Loop: Header=BB6_1342 Depth=2
	v_and_b32_e32 v4, 0x7fff, v17
	v_cmp_gt_u16_e64 s[20:21], s31, v4
	v_cmp_lt_u16_e64 s[22:23], s95, v4
	v_and_b32_e32 v4, 0x7fff, v13
	v_cmp_lt_u16_e64 s[24:25], s95, v4
	s_and_b64 s[78:79], s[24:25], s[20:21]
	s_mov_b64 s[88:89], -1
	s_xor_b64 s[78:79], s[78:79], -1
	s_and_b64 vcc, exec, s[76:77]
                                        ; implicit-def: $vgpr16
	s_cbranch_vccz .LBB6_1394
; %bb.1391:                             ;   in Loop: Header=BB6_1342 Depth=2
	v_mov_b32_e32 v16, v17
	s_and_saveexec_b64 s[88:89], s[78:79]
; %bb.1392:                             ;   in Loop: Header=BB6_1342 Depth=2
	v_cmp_gt_f16_e32 vcc, v13, v17
	v_cndmask_b32_e32 v4, v17, v13, vcc
	s_and_b64 vcc, s[24:25], s[22:23]
	v_cndmask_b32_e32 v4, v4, v56, vcc
	s_or_b64 vcc, s[24:25], s[20:21]
	v_cndmask_b32_e32 v16, v13, v4, vcc
; %bb.1393:                             ;   in Loop: Header=BB6_1342 Depth=2
	s_or_b64 exec, exec, s[88:89]
	s_mov_b64 s[88:89], 0
.LBB6_1394:                             ;   in Loop: Header=BB6_1342 Depth=2
	s_andn2_b64 vcc, exec, s[88:89]
	s_cbranch_vccnz .LBB6_1398
; %bb.1395:                             ;   in Loop: Header=BB6_1342 Depth=2
	v_mov_b32_e32 v16, v17
	s_and_saveexec_b64 s[88:89], s[78:79]
; %bb.1396:                             ;   in Loop: Header=BB6_1342 Depth=2
	v_cmp_gt_f16_e32 vcc, v13, v17
	v_cndmask_b32_e32 v4, v13, v17, vcc
	s_and_b64 vcc, s[24:25], s[22:23]
	v_cndmask_b32_e32 v4, v4, v56, vcc
	s_or_b64 vcc, s[24:25], s[20:21]
	v_cndmask_b32_e32 v16, v13, v4, vcc
; %bb.1397:                             ;   in Loop: Header=BB6_1342 Depth=2
	s_or_b64 exec, exec, s[88:89]
.LBB6_1398:                             ;   in Loop: Header=BB6_1342 Depth=2
	v_lshrrev_b32_e32 v27, 16, v13
	v_lshrrev_b32_e32 v13, 16, v17
	v_and_b32_e32 v4, 0x7fff, v13
	v_cmp_gt_u16_e64 s[20:21], s31, v4
	v_cmp_lt_u16_e64 s[22:23], s95, v4
	v_and_b32_e32 v4, 0x7fff, v27
	v_cmp_lt_u16_e64 s[24:25], s95, v4
	s_and_b64 s[78:79], s[24:25], s[20:21]
	s_mov_b64 s[88:89], -1
	s_xor_b64 s[78:79], s[78:79], -1
	s_and_b64 vcc, exec, s[76:77]
                                        ; implicit-def: $vgpr17
	s_cbranch_vccz .LBB6_1402
; %bb.1399:                             ;   in Loop: Header=BB6_1342 Depth=2
	v_mov_b32_e32 v17, v13
	s_and_saveexec_b64 s[88:89], s[78:79]
; %bb.1400:                             ;   in Loop: Header=BB6_1342 Depth=2
	v_cmp_gt_f16_e32 vcc, v27, v13
	v_cndmask_b32_e32 v4, v13, v27, vcc
	s_and_b64 vcc, s[24:25], s[22:23]
	v_cndmask_b32_e32 v4, v4, v56, vcc
	s_or_b64 vcc, s[24:25], s[20:21]
	v_cndmask_b32_e32 v17, v27, v4, vcc
; %bb.1401:                             ;   in Loop: Header=BB6_1342 Depth=2
	s_or_b64 exec, exec, s[88:89]
	s_mov_b64 s[88:89], 0
.LBB6_1402:                             ;   in Loop: Header=BB6_1342 Depth=2
	s_andn2_b64 vcc, exec, s[88:89]
	s_cbranch_vccnz .LBB6_1341
; %bb.1403:                             ;   in Loop: Header=BB6_1342 Depth=2
	s_and_saveexec_b64 s[88:89], s[78:79]
	s_cbranch_execz .LBB6_1340
; %bb.1404:                             ;   in Loop: Header=BB6_1342 Depth=2
	v_cmp_gt_f16_e32 vcc, v27, v13
	v_cndmask_b32_e32 v4, v27, v13, vcc
	s_and_b64 vcc, s[24:25], s[22:23]
	v_cndmask_b32_e32 v4, v4, v56, vcc
	s_or_b64 vcc, s[24:25], s[20:21]
	v_cndmask_b32_e32 v13, v27, v4, vcc
	s_branch .LBB6_1340
.LBB6_1405:                             ;   in Loop: Header=BB6_877 Depth=1
	s_or_b64 exec, exec, s[74:75]
	buffer_load_dword v18, off, s[0:3], s33 offset:184 ; 4-byte Folded Reload
	buffer_load_dword v6, off, s[0:3], s33 offset:64 ; 4-byte Folded Reload
	;; [unrolled: 1-line block ×3, first 2 shown]
	v_mov_b32_e32 v10, v44
	v_mov_b32_e32 v11, v45
.LBB6_1406:                             ;   in Loop: Header=BB6_877 Depth=1
	s_or_b64 exec, exec, s[72:73]
	v_and_b32_e32 v0, 14, v31
	v_sub_u32_e32 v1, v23, v0
	v_cmp_lt_i32_e32 vcc, 0, v24
	v_cndmask_b32_e64 v1, 0, v1, s[18:19]
	v_cndmask_b32_e64 v31, v23, v0, s[18:19]
	v_cndmask_b32_e32 v0, 0, v55, vcc
	v_add3_u32 v4, v22, v20, v1
	v_sub_u32_e32 v0, v0, v24
	v_cmp_ne_u32_e32 vcc, 0, v31
	v_mov_b32_e32 v22, v28
	v_lshl_add_u32 v2, v0, 6, v21
	s_and_b64 s[18:19], vcc, exec
	v_mov_b32_e32 v23, v29
.LBB6_1407:                             ;   in Loop: Header=BB6_877 Depth=1
	s_or_b64 exec, exec, s[62:63]
	buffer_load_dword v16, off, s[0:3], s33 offset:72 ; 4-byte Folded Reload
	buffer_load_dword v17, off, s[0:3], s33 offset:76 ; 4-byte Folded Reload
	s_and_saveexec_b64 s[62:63], s[18:19]
	s_cbranch_execz .LBB6_1616
.LBB6_1408:                             ;   in Loop: Header=BB6_877 Depth=1
	v_ashrrev_i32_e32 v0, 31, v2
	v_ashrrev_i32_e32 v1, 31, v31
	v_lshrrev_b32_e32 v0, 26, v0
	v_lshrrev_b32_e32 v1, 21, v1
	v_add_u32_e32 v0, v2, v0
	v_add_u32_e32 v1, v31, v1
	v_ashrrev_i32_e32 v3, 6, v0
	v_ashrrev_i32_e32 v1, 11, v1
	v_sub_u32_e32 v15, v1, v3
	v_cmp_lt_i32_e32 vcc, 0, v15
	s_and_saveexec_b64 s[72:73], vcc
	s_cbranch_execz .LBB6_1604
; %bb.1409:                             ;   in Loop: Header=BB6_877 Depth=1
	v_and_b32_e32 v0, 0x7fffffc0, v0
	v_sub_u32_e32 v0, v2, v0
	buffer_store_dword v1, off, s[0:3], s33 offset:224 ; 4-byte Folded Spill
	buffer_store_dword v31, off, s[0:3], s33 offset:180 ; 4-byte Folded Spill
	;; [unrolled: 1-line block ×4, first 2 shown]
	s_nop 0
	buffer_store_dword v32, off, s[0:3], s33 offset:172 ; 4-byte Folded Spill
	buffer_store_dword v22, off, s[0:3], s33 offset:88 ; 4-byte Folded Spill
	s_nop 0
	buffer_store_dword v23, off, s[0:3], s33 offset:92 ; 4-byte Folded Spill
	buffer_store_dword v50, off, s[0:3], s33 offset:96 ; 4-byte Folded Spill
	s_nop 0
	buffer_store_dword v51, off, s[0:3], s33 offset:100 ; 4-byte Folded Spill
	buffer_store_dword v52, off, s[0:3], s33 offset:104 ; 4-byte Folded Spill
	buffer_store_dword v53, off, s[0:3], s33 offset:108 ; 4-byte Folded Spill
	v_lshlrev_b32_e32 v0, 1, v0
	v_lshlrev_b32_e32 v1, 11, v3
	v_mov_b32_e32 v8, v4
	v_add3_u32 v4, v0, v4, v1
	buffer_store_dword v2, off, s[0:3], s33 offset:212 ; 4-byte Folded Spill
	buffer_store_dword v3, off, s[0:3], s33 offset:220 ; 4-byte Folded Spill
	s_trap 2
	ds_read_b64 v[2:3], v0
	s_waitcnt vmcnt(16)
	v_add_co_u32_e32 v0, vcc, v4, v6
	buffer_store_dword v6, off, s[0:3], s33 offset:64 ; 4-byte Folded Spill
	s_waitcnt vmcnt(16)
	buffer_store_dword v7, off, s[0:3], s33 offset:68 ; 4-byte Folded Spill
	v_ashrrev_i32_e32 v5, 31, v4
	v_mov_b32_e32 v45, v11
	s_bitcmp1_b32 s92, 0
	v_mov_b32_e32 v44, v10
	s_cselect_b64 s[74:75], -1, 0
	s_mov_b64 s[76:77], 0
	v_addc_co_u32_e32 v1, vcc, v5, v7, vcc
	s_waitcnt lgkmcnt(0)
	v_add_co_u32_e32 v2, vcc, v2, v4
	v_addc_co_u32_e32 v3, vcc, v3, v5, vcc
	v_add_co_u32_e32 v6, vcc, 0x780, v10
	v_addc_co_u32_e32 v7, vcc, 0, v11, vcc
	;; [unrolled: 2-line block ×3, first 2 shown]
	s_branch .LBB6_1413
.LBB6_1410:                             ;   in Loop: Header=BB6_1413 Depth=2
	s_or_b64 exec, exec, s[22:23]
	v_mov_b32_e32 v18, v17
.LBB6_1411:                             ;   in Loop: Header=BB6_1413 Depth=2
	s_or_b64 exec, exec, s[78:79]
	v_mov_b32_e32 v20, v18
.LBB6_1412:                             ;   in Loop: Header=BB6_1413 Depth=2
	v_add_co_u32_e32 v4, vcc, 0xfffff880, v10
	v_addc_co_u32_e32 v5, vcc, -1, v11, vcc
	flat_store_short v[4:5], v31 glc slc
	v_add_co_u32_e32 v4, vcc, 0xfffff900, v10
	v_addc_co_u32_e32 v5, vcc, -1, v11, vcc
	flat_store_short v[4:5], v12 glc slc
	;; [unrolled: 3-line block ×15, first 2 shown]
	flat_store_short v[10:11], v20 glc slc
	v_mov_b32_e32 v4, v57
	v_add_co_u32_e32 v0, vcc, v0, v4
	v_addc_co_u32_e32 v1, vcc, 0, v1, vcc
	v_add_co_u32_e32 v2, vcc, v2, v4
	v_addc_co_u32_e32 v3, vcc, 0, v3, vcc
	v_sub_u32_e32 v15, v15, v55
	v_cmp_gt_i32_e32 vcc, 1, v15
	s_or_b64 s[76:77], vcc, s[76:77]
	v_add_co_u32_e32 v10, vcc, v10, v4
	v_addc_co_u32_e32 v11, vcc, 0, v11, vcc
	s_andn2_b64 exec, exec, s[76:77]
	s_cbranch_execz .LBB6_1603
.LBB6_1413:                             ;   Parent Loop BB6_877 Depth=1
                                        ; =>  This Inner Loop Header: Depth=2
	flat_load_ushort v12, v[0:1] glc slc
	s_waitcnt vmcnt(0)
	flat_load_ushort v16, v[0:1] offset:128 glc slc
	flat_load_ushort v14, v[0:1] offset:256 glc slc
	;; [unrolled: 1-line block ×15, first 2 shown]
	flat_load_ushort v19, v[2:3] glc slc
	flat_load_ushort v23, v[2:3] offset:128 glc slc
	flat_load_ushort v25, v[2:3] offset:256 glc slc
	;; [unrolled: 1-line block ×15, first 2 shown]
	s_mov_b64 s[22:23], -1
	s_and_b64 vcc, exec, s[74:75]
                                        ; implicit-def: $vgpr31
	s_waitcnt lgkmcnt(0)
	v_and_b32_e32 v4, 0x7fff, v12
	v_cmp_lt_u16_e64 s[18:19], s95, v4
	s_waitcnt vmcnt(0)
	v_and_b32_e32 v13, 0x7fff, v19
	v_cmp_gt_u16_e64 s[20:21], s31, v13
	s_and_b64 s[24:25], s[18:19], s[20:21]
	s_xor_b64 s[24:25], s[24:25], -1
	s_cbranch_vccz .LBB6_1419
; %bb.1414:                             ;   in Loop: Header=BB6_1413 Depth=2
	v_mov_b32_e32 v31, v19
	s_and_saveexec_b64 s[78:79], s[24:25]
	s_cbranch_execz .LBB6_1418
; %bb.1415:                             ;   in Loop: Header=BB6_1413 Depth=2
	s_or_b64 s[22:23], s[18:19], s[20:21]
	v_mov_b32_e32 v31, v12
	s_and_saveexec_b64 s[88:89], s[22:23]
; %bb.1416:                             ;   in Loop: Header=BB6_1413 Depth=2
	v_cmp_lt_u16_e32 vcc, s95, v13
	v_cmp_gt_f16_e64 s[22:23], v12, v19
	v_cndmask_b32_e64 v4, v19, v12, s[22:23]
	s_and_b64 vcc, s[18:19], vcc
	v_cndmask_b32_e32 v31, v4, v56, vcc
; %bb.1417:                             ;   in Loop: Header=BB6_1413 Depth=2
	s_or_b64 exec, exec, s[88:89]
.LBB6_1418:                             ;   in Loop: Header=BB6_1413 Depth=2
	s_or_b64 exec, exec, s[78:79]
	s_mov_b64 s[22:23], 0
.LBB6_1419:                             ;   in Loop: Header=BB6_1413 Depth=2
	s_andn2_b64 vcc, exec, s[22:23]
	s_cbranch_vccnz .LBB6_1425
; %bb.1420:                             ;   in Loop: Header=BB6_1413 Depth=2
	s_and_saveexec_b64 s[22:23], s[24:25]
	s_cbranch_execz .LBB6_1424
; %bb.1421:                             ;   in Loop: Header=BB6_1413 Depth=2
	s_or_b64 s[20:21], s[18:19], s[20:21]
	s_and_saveexec_b64 s[24:25], s[20:21]
; %bb.1422:                             ;   in Loop: Header=BB6_1413 Depth=2
	v_cmp_lt_u16_e32 vcc, s95, v13
	v_cmp_gt_f16_e64 s[20:21], v12, v19
	v_cndmask_b32_e64 v4, v12, v19, s[20:21]
	s_and_b64 vcc, s[18:19], vcc
	v_cndmask_b32_e32 v12, v4, v56, vcc
; %bb.1423:                             ;   in Loop: Header=BB6_1413 Depth=2
	s_or_b64 exec, exec, s[24:25]
	v_mov_b32_e32 v19, v12
.LBB6_1424:                             ;   in Loop: Header=BB6_1413 Depth=2
	s_or_b64 exec, exec, s[22:23]
	v_mov_b32_e32 v31, v19
.LBB6_1425:                             ;   in Loop: Header=BB6_1413 Depth=2
	v_and_b32_e32 v4, 0x7fff, v16
	v_and_b32_e32 v13, 0x7fff, v23
	v_cmp_lt_u16_e64 s[20:21], s95, v4
	v_cmp_gt_u16_e64 s[22:23], s31, v13
	s_and_b64 s[18:19], s[20:21], s[22:23]
	v_cndmask_b32_e64 v4, 0, 1, s[74:75]
	s_mov_b64 s[24:25], -1
	s_xor_b64 s[78:79], s[18:19], -1
	v_cmp_ne_u32_e64 s[18:19], 1, v4
	s_andn2_b64 vcc, exec, s[74:75]
                                        ; implicit-def: $vgpr12
	s_cbranch_vccnz .LBB6_1431
; %bb.1426:                             ;   in Loop: Header=BB6_1413 Depth=2
	v_mov_b32_e32 v12, v23
	s_and_saveexec_b64 s[88:89], s[78:79]
	s_cbranch_execz .LBB6_1430
; %bb.1427:                             ;   in Loop: Header=BB6_1413 Depth=2
	s_or_b64 s[24:25], s[20:21], s[22:23]
	v_mov_b32_e32 v12, v16
	s_and_saveexec_b64 s[90:91], s[24:25]
; %bb.1428:                             ;   in Loop: Header=BB6_1413 Depth=2
	v_cmp_lt_u16_e32 vcc, s95, v13
	v_cmp_gt_f16_e64 s[24:25], v16, v23
	v_cndmask_b32_e64 v4, v23, v16, s[24:25]
	s_and_b64 vcc, s[20:21], vcc
	v_cndmask_b32_e32 v12, v4, v56, vcc
; %bb.1429:                             ;   in Loop: Header=BB6_1413 Depth=2
	s_or_b64 exec, exec, s[90:91]
.LBB6_1430:                             ;   in Loop: Header=BB6_1413 Depth=2
	s_or_b64 exec, exec, s[88:89]
	s_mov_b64 s[24:25], 0
.LBB6_1431:                             ;   in Loop: Header=BB6_1413 Depth=2
	s_andn2_b64 vcc, exec, s[24:25]
	s_cbranch_vccnz .LBB6_1437
; %bb.1432:                             ;   in Loop: Header=BB6_1413 Depth=2
	s_and_saveexec_b64 s[24:25], s[78:79]
	s_cbranch_execz .LBB6_1436
; %bb.1433:                             ;   in Loop: Header=BB6_1413 Depth=2
	s_or_b64 s[22:23], s[20:21], s[22:23]
	s_and_saveexec_b64 s[78:79], s[22:23]
; %bb.1434:                             ;   in Loop: Header=BB6_1413 Depth=2
	v_cmp_lt_u16_e32 vcc, s95, v13
	v_cmp_gt_f16_e64 s[22:23], v16, v23
	v_cndmask_b32_e64 v4, v16, v23, s[22:23]
	s_and_b64 vcc, s[20:21], vcc
	v_cndmask_b32_e32 v16, v4, v56, vcc
; %bb.1435:                             ;   in Loop: Header=BB6_1413 Depth=2
	s_or_b64 exec, exec, s[78:79]
	v_mov_b32_e32 v23, v16
.LBB6_1436:                             ;   in Loop: Header=BB6_1413 Depth=2
	s_or_b64 exec, exec, s[24:25]
	v_mov_b32_e32 v12, v23
.LBB6_1437:                             ;   in Loop: Header=BB6_1413 Depth=2
	v_and_b32_e32 v4, 0x7fff, v14
	v_and_b32_e32 v13, 0x7fff, v25
	v_cmp_lt_u16_e64 s[20:21], s95, v4
	v_cmp_gt_u16_e64 s[22:23], s31, v13
	s_and_b64 s[78:79], s[20:21], s[22:23]
	s_mov_b64 s[24:25], -1
	s_and_b64 vcc, exec, s[18:19]
	s_xor_b64 s[78:79], s[78:79], -1
                                        ; implicit-def: $vgpr16
	s_cbranch_vccnz .LBB6_1443
; %bb.1438:                             ;   in Loop: Header=BB6_1413 Depth=2
	v_mov_b32_e32 v16, v25
	s_and_saveexec_b64 s[88:89], s[78:79]
	s_cbranch_execz .LBB6_1442
; %bb.1439:                             ;   in Loop: Header=BB6_1413 Depth=2
	s_or_b64 s[24:25], s[20:21], s[22:23]
	v_mov_b32_e32 v16, v14
	s_and_saveexec_b64 s[90:91], s[24:25]
; %bb.1440:                             ;   in Loop: Header=BB6_1413 Depth=2
	v_cmp_lt_u16_e32 vcc, s95, v13
	v_cmp_gt_f16_e64 s[24:25], v14, v25
	v_cndmask_b32_e64 v4, v25, v14, s[24:25]
	s_and_b64 vcc, s[20:21], vcc
	v_cndmask_b32_e32 v16, v4, v56, vcc
; %bb.1441:                             ;   in Loop: Header=BB6_1413 Depth=2
	s_or_b64 exec, exec, s[90:91]
.LBB6_1442:                             ;   in Loop: Header=BB6_1413 Depth=2
	s_or_b64 exec, exec, s[88:89]
	s_mov_b64 s[24:25], 0
.LBB6_1443:                             ;   in Loop: Header=BB6_1413 Depth=2
	s_andn2_b64 vcc, exec, s[24:25]
	s_cbranch_vccnz .LBB6_1449
; %bb.1444:                             ;   in Loop: Header=BB6_1413 Depth=2
	s_and_saveexec_b64 s[24:25], s[78:79]
	s_cbranch_execz .LBB6_1448
; %bb.1445:                             ;   in Loop: Header=BB6_1413 Depth=2
	s_or_b64 s[22:23], s[20:21], s[22:23]
	s_and_saveexec_b64 s[78:79], s[22:23]
; %bb.1446:                             ;   in Loop: Header=BB6_1413 Depth=2
	v_cmp_lt_u16_e32 vcc, s95, v13
	v_cmp_gt_f16_e64 s[22:23], v14, v25
	v_cndmask_b32_e64 v4, v14, v25, s[22:23]
	s_and_b64 vcc, s[20:21], vcc
	v_cndmask_b32_e32 v14, v4, v56, vcc
; %bb.1447:                             ;   in Loop: Header=BB6_1413 Depth=2
	s_or_b64 exec, exec, s[78:79]
	v_mov_b32_e32 v25, v14
.LBB6_1448:                             ;   in Loop: Header=BB6_1413 Depth=2
	s_or_b64 exec, exec, s[24:25]
	v_mov_b32_e32 v16, v25
.LBB6_1449:                             ;   in Loop: Header=BB6_1413 Depth=2
	v_and_b32_e32 v4, 0x7fff, v33
	v_and_b32_e32 v13, 0x7fff, v28
	v_cmp_lt_u16_e64 s[20:21], s95, v4
	v_cmp_gt_u16_e64 s[22:23], s31, v13
	s_and_b64 s[78:79], s[20:21], s[22:23]
	s_mov_b64 s[24:25], -1
	s_and_b64 vcc, exec, s[18:19]
	s_xor_b64 s[78:79], s[78:79], -1
                                        ; implicit-def: $vgpr14
	s_cbranch_vccnz .LBB6_1455
; %bb.1450:                             ;   in Loop: Header=BB6_1413 Depth=2
	v_mov_b32_e32 v14, v28
	s_and_saveexec_b64 s[88:89], s[78:79]
	s_cbranch_execz .LBB6_1454
; %bb.1451:                             ;   in Loop: Header=BB6_1413 Depth=2
	s_or_b64 s[24:25], s[20:21], s[22:23]
	v_mov_b32_e32 v14, v33
	s_and_saveexec_b64 s[90:91], s[24:25]
; %bb.1452:                             ;   in Loop: Header=BB6_1413 Depth=2
	v_cmp_lt_u16_e32 vcc, s95, v13
	v_cmp_gt_f16_e64 s[24:25], v33, v28
	v_cndmask_b32_e64 v4, v28, v33, s[24:25]
	s_and_b64 vcc, s[20:21], vcc
	v_cndmask_b32_e32 v14, v4, v56, vcc
; %bb.1453:                             ;   in Loop: Header=BB6_1413 Depth=2
	s_or_b64 exec, exec, s[90:91]
.LBB6_1454:                             ;   in Loop: Header=BB6_1413 Depth=2
	s_or_b64 exec, exec, s[88:89]
	s_mov_b64 s[24:25], 0
.LBB6_1455:                             ;   in Loop: Header=BB6_1413 Depth=2
	s_andn2_b64 vcc, exec, s[24:25]
	s_cbranch_vccnz .LBB6_1461
; %bb.1456:                             ;   in Loop: Header=BB6_1413 Depth=2
	s_and_saveexec_b64 s[24:25], s[78:79]
	s_cbranch_execz .LBB6_1460
; %bb.1457:                             ;   in Loop: Header=BB6_1413 Depth=2
	s_or_b64 s[22:23], s[20:21], s[22:23]
	s_and_saveexec_b64 s[78:79], s[22:23]
; %bb.1458:                             ;   in Loop: Header=BB6_1413 Depth=2
	v_cmp_lt_u16_e32 vcc, s95, v13
	v_cmp_gt_f16_e64 s[22:23], v33, v28
	v_cndmask_b32_e64 v4, v33, v28, s[22:23]
	s_and_b64 vcc, s[20:21], vcc
	v_cndmask_b32_e32 v33, v4, v56, vcc
; %bb.1459:                             ;   in Loop: Header=BB6_1413 Depth=2
	s_or_b64 exec, exec, s[78:79]
	v_mov_b32_e32 v28, v33
.LBB6_1460:                             ;   in Loop: Header=BB6_1413 Depth=2
	s_or_b64 exec, exec, s[24:25]
	v_mov_b32_e32 v14, v28
.LBB6_1461:                             ;   in Loop: Header=BB6_1413 Depth=2
	v_and_b32_e32 v4, 0x7fff, v36
	v_and_b32_e32 v13, 0x7fff, v62
	v_cmp_lt_u16_e64 s[20:21], s95, v4
	v_cmp_gt_u16_e64 s[22:23], s31, v13
	s_and_b64 s[78:79], s[20:21], s[22:23]
	s_mov_b64 s[24:25], -1
	s_and_b64 vcc, exec, s[18:19]
	s_xor_b64 s[78:79], s[78:79], -1
                                        ; implicit-def: $vgpr33
	s_cbranch_vccnz .LBB6_1467
; %bb.1462:                             ;   in Loop: Header=BB6_1413 Depth=2
	v_mov_b32_e32 v33, v62
	s_and_saveexec_b64 s[88:89], s[78:79]
	s_cbranch_execz .LBB6_1466
; %bb.1463:                             ;   in Loop: Header=BB6_1413 Depth=2
	s_or_b64 s[24:25], s[20:21], s[22:23]
	v_mov_b32_e32 v33, v36
	s_and_saveexec_b64 s[90:91], s[24:25]
; %bb.1464:                             ;   in Loop: Header=BB6_1413 Depth=2
	v_cmp_lt_u16_e32 vcc, s95, v13
	v_cmp_gt_f16_e64 s[24:25], v36, v62
	v_cndmask_b32_e64 v4, v62, v36, s[24:25]
	s_and_b64 vcc, s[20:21], vcc
	v_cndmask_b32_e32 v33, v4, v56, vcc
; %bb.1465:                             ;   in Loop: Header=BB6_1413 Depth=2
	s_or_b64 exec, exec, s[90:91]
.LBB6_1466:                             ;   in Loop: Header=BB6_1413 Depth=2
	s_or_b64 exec, exec, s[88:89]
	s_mov_b64 s[24:25], 0
.LBB6_1467:                             ;   in Loop: Header=BB6_1413 Depth=2
	s_andn2_b64 vcc, exec, s[24:25]
	s_cbranch_vccnz .LBB6_1473
; %bb.1468:                             ;   in Loop: Header=BB6_1413 Depth=2
	s_and_saveexec_b64 s[24:25], s[78:79]
	s_cbranch_execz .LBB6_1472
; %bb.1469:                             ;   in Loop: Header=BB6_1413 Depth=2
	s_or_b64 s[22:23], s[20:21], s[22:23]
	s_and_saveexec_b64 s[78:79], s[22:23]
; %bb.1470:                             ;   in Loop: Header=BB6_1413 Depth=2
	v_cmp_lt_u16_e32 vcc, s95, v13
	v_cmp_gt_f16_e64 s[22:23], v36, v62
	v_cndmask_b32_e64 v4, v36, v62, s[22:23]
	s_and_b64 vcc, s[20:21], vcc
	v_cndmask_b32_e32 v36, v4, v56, vcc
; %bb.1471:                             ;   in Loop: Header=BB6_1413 Depth=2
	s_or_b64 exec, exec, s[78:79]
	v_mov_b32_e32 v62, v36
.LBB6_1472:                             ;   in Loop: Header=BB6_1413 Depth=2
	s_or_b64 exec, exec, s[24:25]
	v_mov_b32_e32 v33, v62
.LBB6_1473:                             ;   in Loop: Header=BB6_1413 Depth=2
	v_and_b32_e32 v4, 0x7fff, v39
	v_and_b32_e32 v13, 0x7fff, v61
	v_cmp_lt_u16_e64 s[20:21], s95, v4
	v_cmp_gt_u16_e64 s[22:23], s31, v13
	s_and_b64 s[78:79], s[20:21], s[22:23]
	s_mov_b64 s[24:25], -1
	s_and_b64 vcc, exec, s[18:19]
	s_xor_b64 s[78:79], s[78:79], -1
                                        ; implicit-def: $vgpr36
	s_cbranch_vccnz .LBB6_1479
; %bb.1474:                             ;   in Loop: Header=BB6_1413 Depth=2
	v_mov_b32_e32 v36, v61
	s_and_saveexec_b64 s[88:89], s[78:79]
	s_cbranch_execz .LBB6_1478
; %bb.1475:                             ;   in Loop: Header=BB6_1413 Depth=2
	s_or_b64 s[24:25], s[20:21], s[22:23]
	v_mov_b32_e32 v36, v39
	s_and_saveexec_b64 s[90:91], s[24:25]
; %bb.1476:                             ;   in Loop: Header=BB6_1413 Depth=2
	v_cmp_lt_u16_e32 vcc, s95, v13
	v_cmp_gt_f16_e64 s[24:25], v39, v61
	v_cndmask_b32_e64 v4, v61, v39, s[24:25]
	s_and_b64 vcc, s[20:21], vcc
	v_cndmask_b32_e32 v36, v4, v56, vcc
; %bb.1477:                             ;   in Loop: Header=BB6_1413 Depth=2
	s_or_b64 exec, exec, s[90:91]
.LBB6_1478:                             ;   in Loop: Header=BB6_1413 Depth=2
	s_or_b64 exec, exec, s[88:89]
	s_mov_b64 s[24:25], 0
.LBB6_1479:                             ;   in Loop: Header=BB6_1413 Depth=2
	s_andn2_b64 vcc, exec, s[24:25]
	s_cbranch_vccnz .LBB6_1485
; %bb.1480:                             ;   in Loop: Header=BB6_1413 Depth=2
	s_and_saveexec_b64 s[24:25], s[78:79]
	s_cbranch_execz .LBB6_1484
; %bb.1481:                             ;   in Loop: Header=BB6_1413 Depth=2
	s_or_b64 s[22:23], s[20:21], s[22:23]
	s_and_saveexec_b64 s[78:79], s[22:23]
; %bb.1482:                             ;   in Loop: Header=BB6_1413 Depth=2
	v_cmp_lt_u16_e32 vcc, s95, v13
	v_cmp_gt_f16_e64 s[22:23], v39, v61
	v_cndmask_b32_e64 v4, v39, v61, s[22:23]
	s_and_b64 vcc, s[20:21], vcc
	v_cndmask_b32_e32 v39, v4, v56, vcc
; %bb.1483:                             ;   in Loop: Header=BB6_1413 Depth=2
	s_or_b64 exec, exec, s[78:79]
	v_mov_b32_e32 v61, v39
.LBB6_1484:                             ;   in Loop: Header=BB6_1413 Depth=2
	s_or_b64 exec, exec, s[24:25]
	v_mov_b32_e32 v36, v61
.LBB6_1485:                             ;   in Loop: Header=BB6_1413 Depth=2
	v_and_b32_e32 v4, 0x7fff, v50
	v_and_b32_e32 v13, 0x7fff, v53
	v_cmp_lt_u16_e64 s[20:21], s95, v4
	v_cmp_gt_u16_e64 s[22:23], s31, v13
	s_and_b64 s[78:79], s[20:21], s[22:23]
	s_mov_b64 s[24:25], -1
	s_and_b64 vcc, exec, s[18:19]
	s_xor_b64 s[78:79], s[78:79], -1
                                        ; implicit-def: $vgpr39
	s_cbranch_vccnz .LBB6_1491
; %bb.1486:                             ;   in Loop: Header=BB6_1413 Depth=2
	v_mov_b32_e32 v39, v53
	s_and_saveexec_b64 s[88:89], s[78:79]
	s_cbranch_execz .LBB6_1490
; %bb.1487:                             ;   in Loop: Header=BB6_1413 Depth=2
	s_or_b64 s[24:25], s[20:21], s[22:23]
	v_mov_b32_e32 v39, v50
	s_and_saveexec_b64 s[90:91], s[24:25]
; %bb.1488:                             ;   in Loop: Header=BB6_1413 Depth=2
	v_cmp_lt_u16_e32 vcc, s95, v13
	v_cmp_gt_f16_e64 s[24:25], v50, v53
	v_cndmask_b32_e64 v4, v53, v50, s[24:25]
	s_and_b64 vcc, s[20:21], vcc
	v_cndmask_b32_e32 v39, v4, v56, vcc
; %bb.1489:                             ;   in Loop: Header=BB6_1413 Depth=2
	s_or_b64 exec, exec, s[90:91]
.LBB6_1490:                             ;   in Loop: Header=BB6_1413 Depth=2
	s_or_b64 exec, exec, s[88:89]
	s_mov_b64 s[24:25], 0
.LBB6_1491:                             ;   in Loop: Header=BB6_1413 Depth=2
	s_andn2_b64 vcc, exec, s[24:25]
	s_cbranch_vccnz .LBB6_1497
; %bb.1492:                             ;   in Loop: Header=BB6_1413 Depth=2
	s_and_saveexec_b64 s[24:25], s[78:79]
	s_cbranch_execz .LBB6_1496
; %bb.1493:                             ;   in Loop: Header=BB6_1413 Depth=2
	s_or_b64 s[22:23], s[20:21], s[22:23]
	s_and_saveexec_b64 s[78:79], s[22:23]
; %bb.1494:                             ;   in Loop: Header=BB6_1413 Depth=2
	v_cmp_lt_u16_e32 vcc, s95, v13
	v_cmp_gt_f16_e64 s[22:23], v50, v53
	v_cndmask_b32_e64 v4, v50, v53, s[22:23]
	s_and_b64 vcc, s[20:21], vcc
	v_cndmask_b32_e32 v50, v4, v56, vcc
; %bb.1495:                             ;   in Loop: Header=BB6_1413 Depth=2
	s_or_b64 exec, exec, s[78:79]
	v_mov_b32_e32 v53, v50
.LBB6_1496:                             ;   in Loop: Header=BB6_1413 Depth=2
	s_or_b64 exec, exec, s[24:25]
	v_mov_b32_e32 v39, v53
.LBB6_1497:                             ;   in Loop: Header=BB6_1413 Depth=2
	v_and_b32_e32 v4, 0x7fff, v51
	v_and_b32_e32 v13, 0x7fff, v52
	v_cmp_lt_u16_e64 s[20:21], s95, v4
	v_cmp_gt_u16_e64 s[22:23], s31, v13
	s_and_b64 s[78:79], s[20:21], s[22:23]
	s_mov_b64 s[24:25], -1
	s_and_b64 vcc, exec, s[18:19]
	s_xor_b64 s[78:79], s[78:79], -1
                                        ; implicit-def: $vgpr50
	s_cbranch_vccnz .LBB6_1503
; %bb.1498:                             ;   in Loop: Header=BB6_1413 Depth=2
	v_mov_b32_e32 v50, v52
	s_and_saveexec_b64 s[88:89], s[78:79]
	s_cbranch_execz .LBB6_1502
; %bb.1499:                             ;   in Loop: Header=BB6_1413 Depth=2
	s_or_b64 s[24:25], s[20:21], s[22:23]
	v_mov_b32_e32 v50, v51
	s_and_saveexec_b64 s[90:91], s[24:25]
; %bb.1500:                             ;   in Loop: Header=BB6_1413 Depth=2
	v_cmp_lt_u16_e32 vcc, s95, v13
	v_cmp_gt_f16_e64 s[24:25], v51, v52
	v_cndmask_b32_e64 v4, v52, v51, s[24:25]
	s_and_b64 vcc, s[20:21], vcc
	v_cndmask_b32_e32 v50, v4, v56, vcc
; %bb.1501:                             ;   in Loop: Header=BB6_1413 Depth=2
	s_or_b64 exec, exec, s[90:91]
.LBB6_1502:                             ;   in Loop: Header=BB6_1413 Depth=2
	s_or_b64 exec, exec, s[88:89]
	s_mov_b64 s[24:25], 0
.LBB6_1503:                             ;   in Loop: Header=BB6_1413 Depth=2
	s_andn2_b64 vcc, exec, s[24:25]
	s_cbranch_vccnz .LBB6_1509
; %bb.1504:                             ;   in Loop: Header=BB6_1413 Depth=2
	s_and_saveexec_b64 s[24:25], s[78:79]
	s_cbranch_execz .LBB6_1508
; %bb.1505:                             ;   in Loop: Header=BB6_1413 Depth=2
	s_or_b64 s[22:23], s[20:21], s[22:23]
	s_and_saveexec_b64 s[78:79], s[22:23]
; %bb.1506:                             ;   in Loop: Header=BB6_1413 Depth=2
	v_cmp_lt_u16_e32 vcc, s95, v13
	v_cmp_gt_f16_e64 s[22:23], v51, v52
	v_cndmask_b32_e64 v4, v51, v52, s[22:23]
	s_and_b64 vcc, s[20:21], vcc
	v_cndmask_b32_e32 v51, v4, v56, vcc
; %bb.1507:                             ;   in Loop: Header=BB6_1413 Depth=2
	s_or_b64 exec, exec, s[78:79]
	v_mov_b32_e32 v52, v51
.LBB6_1508:                             ;   in Loop: Header=BB6_1413 Depth=2
	s_or_b64 exec, exec, s[24:25]
	v_mov_b32_e32 v50, v52
.LBB6_1509:                             ;   in Loop: Header=BB6_1413 Depth=2
	v_and_b32_e32 v4, 0x7fff, v48
	v_and_b32_e32 v13, 0x7fff, v49
	v_cmp_lt_u16_e64 s[20:21], s95, v4
	v_cmp_gt_u16_e64 s[22:23], s31, v13
	s_and_b64 s[78:79], s[20:21], s[22:23]
	s_mov_b64 s[24:25], -1
	s_and_b64 vcc, exec, s[18:19]
	s_xor_b64 s[78:79], s[78:79], -1
                                        ; implicit-def: $vgpr51
	s_cbranch_vccnz .LBB6_1515
; %bb.1510:                             ;   in Loop: Header=BB6_1413 Depth=2
	v_mov_b32_e32 v51, v49
	s_and_saveexec_b64 s[88:89], s[78:79]
	s_cbranch_execz .LBB6_1514
; %bb.1511:                             ;   in Loop: Header=BB6_1413 Depth=2
	s_or_b64 s[24:25], s[20:21], s[22:23]
	v_mov_b32_e32 v51, v48
	s_and_saveexec_b64 s[90:91], s[24:25]
; %bb.1512:                             ;   in Loop: Header=BB6_1413 Depth=2
	v_cmp_lt_u16_e32 vcc, s95, v13
	v_cmp_gt_f16_e64 s[24:25], v48, v49
	v_cndmask_b32_e64 v4, v49, v48, s[24:25]
	s_and_b64 vcc, s[20:21], vcc
	v_cndmask_b32_e32 v51, v4, v56, vcc
; %bb.1513:                             ;   in Loop: Header=BB6_1413 Depth=2
	s_or_b64 exec, exec, s[90:91]
.LBB6_1514:                             ;   in Loop: Header=BB6_1413 Depth=2
	s_or_b64 exec, exec, s[88:89]
	s_mov_b64 s[24:25], 0
.LBB6_1515:                             ;   in Loop: Header=BB6_1413 Depth=2
	s_andn2_b64 vcc, exec, s[24:25]
	s_cbranch_vccnz .LBB6_1521
; %bb.1516:                             ;   in Loop: Header=BB6_1413 Depth=2
	s_and_saveexec_b64 s[24:25], s[78:79]
	s_cbranch_execz .LBB6_1520
; %bb.1517:                             ;   in Loop: Header=BB6_1413 Depth=2
	s_or_b64 s[22:23], s[20:21], s[22:23]
	s_and_saveexec_b64 s[78:79], s[22:23]
; %bb.1518:                             ;   in Loop: Header=BB6_1413 Depth=2
	v_cmp_lt_u16_e32 vcc, s95, v13
	v_cmp_gt_f16_e64 s[22:23], v48, v49
	v_cndmask_b32_e64 v4, v48, v49, s[22:23]
	s_and_b64 vcc, s[20:21], vcc
	v_cndmask_b32_e32 v48, v4, v56, vcc
; %bb.1519:                             ;   in Loop: Header=BB6_1413 Depth=2
	s_or_b64 exec, exec, s[78:79]
	v_mov_b32_e32 v49, v48
.LBB6_1520:                             ;   in Loop: Header=BB6_1413 Depth=2
	s_or_b64 exec, exec, s[24:25]
	v_mov_b32_e32 v51, v49
.LBB6_1521:                             ;   in Loop: Header=BB6_1413 Depth=2
	v_and_b32_e32 v4, 0x7fff, v37
	v_and_b32_e32 v13, 0x7fff, v38
	v_cmp_lt_u16_e64 s[20:21], s95, v4
	v_cmp_gt_u16_e64 s[22:23], s31, v13
	s_and_b64 s[78:79], s[20:21], s[22:23]
	s_mov_b64 s[24:25], -1
	s_and_b64 vcc, exec, s[18:19]
	s_xor_b64 s[78:79], s[78:79], -1
                                        ; implicit-def: $vgpr48
	s_cbranch_vccnz .LBB6_1527
; %bb.1522:                             ;   in Loop: Header=BB6_1413 Depth=2
	v_mov_b32_e32 v48, v38
	s_and_saveexec_b64 s[88:89], s[78:79]
	s_cbranch_execz .LBB6_1526
; %bb.1523:                             ;   in Loop: Header=BB6_1413 Depth=2
	s_or_b64 s[24:25], s[20:21], s[22:23]
	v_mov_b32_e32 v48, v37
	s_and_saveexec_b64 s[90:91], s[24:25]
; %bb.1524:                             ;   in Loop: Header=BB6_1413 Depth=2
	v_cmp_lt_u16_e32 vcc, s95, v13
	v_cmp_gt_f16_e64 s[24:25], v37, v38
	v_cndmask_b32_e64 v4, v38, v37, s[24:25]
	s_and_b64 vcc, s[20:21], vcc
	v_cndmask_b32_e32 v48, v4, v56, vcc
; %bb.1525:                             ;   in Loop: Header=BB6_1413 Depth=2
	s_or_b64 exec, exec, s[90:91]
.LBB6_1526:                             ;   in Loop: Header=BB6_1413 Depth=2
	s_or_b64 exec, exec, s[88:89]
	s_mov_b64 s[24:25], 0
.LBB6_1527:                             ;   in Loop: Header=BB6_1413 Depth=2
	s_andn2_b64 vcc, exec, s[24:25]
	s_cbranch_vccnz .LBB6_1533
; %bb.1528:                             ;   in Loop: Header=BB6_1413 Depth=2
	s_and_saveexec_b64 s[24:25], s[78:79]
	s_cbranch_execz .LBB6_1532
; %bb.1529:                             ;   in Loop: Header=BB6_1413 Depth=2
	s_or_b64 s[22:23], s[20:21], s[22:23]
	s_and_saveexec_b64 s[78:79], s[22:23]
; %bb.1530:                             ;   in Loop: Header=BB6_1413 Depth=2
	v_cmp_lt_u16_e32 vcc, s95, v13
	v_cmp_gt_f16_e64 s[22:23], v37, v38
	v_cndmask_b32_e64 v4, v37, v38, s[22:23]
	s_and_b64 vcc, s[20:21], vcc
	v_cndmask_b32_e32 v37, v4, v56, vcc
; %bb.1531:                             ;   in Loop: Header=BB6_1413 Depth=2
	s_or_b64 exec, exec, s[78:79]
	v_mov_b32_e32 v38, v37
.LBB6_1532:                             ;   in Loop: Header=BB6_1413 Depth=2
	s_or_b64 exec, exec, s[24:25]
	v_mov_b32_e32 v48, v38
.LBB6_1533:                             ;   in Loop: Header=BB6_1413 Depth=2
	v_and_b32_e32 v4, 0x7fff, v34
	v_and_b32_e32 v13, 0x7fff, v35
	v_cmp_lt_u16_e64 s[20:21], s95, v4
	v_cmp_gt_u16_e64 s[22:23], s31, v13
	s_and_b64 s[78:79], s[20:21], s[22:23]
	s_mov_b64 s[24:25], -1
	s_and_b64 vcc, exec, s[18:19]
	s_xor_b64 s[78:79], s[78:79], -1
                                        ; implicit-def: $vgpr37
	s_cbranch_vccnz .LBB6_1539
; %bb.1534:                             ;   in Loop: Header=BB6_1413 Depth=2
	v_mov_b32_e32 v37, v35
	s_and_saveexec_b64 s[88:89], s[78:79]
	s_cbranch_execz .LBB6_1538
; %bb.1535:                             ;   in Loop: Header=BB6_1413 Depth=2
	s_or_b64 s[24:25], s[20:21], s[22:23]
	v_mov_b32_e32 v37, v34
	s_and_saveexec_b64 s[90:91], s[24:25]
; %bb.1536:                             ;   in Loop: Header=BB6_1413 Depth=2
	v_cmp_lt_u16_e32 vcc, s95, v13
	v_cmp_gt_f16_e64 s[24:25], v34, v35
	v_cndmask_b32_e64 v4, v35, v34, s[24:25]
	s_and_b64 vcc, s[20:21], vcc
	v_cndmask_b32_e32 v37, v4, v56, vcc
; %bb.1537:                             ;   in Loop: Header=BB6_1413 Depth=2
	s_or_b64 exec, exec, s[90:91]
.LBB6_1538:                             ;   in Loop: Header=BB6_1413 Depth=2
	s_or_b64 exec, exec, s[88:89]
	s_mov_b64 s[24:25], 0
.LBB6_1539:                             ;   in Loop: Header=BB6_1413 Depth=2
	s_andn2_b64 vcc, exec, s[24:25]
	s_cbranch_vccnz .LBB6_1545
; %bb.1540:                             ;   in Loop: Header=BB6_1413 Depth=2
	s_and_saveexec_b64 s[24:25], s[78:79]
	s_cbranch_execz .LBB6_1544
; %bb.1541:                             ;   in Loop: Header=BB6_1413 Depth=2
	s_or_b64 s[22:23], s[20:21], s[22:23]
	s_and_saveexec_b64 s[78:79], s[22:23]
; %bb.1542:                             ;   in Loop: Header=BB6_1413 Depth=2
	v_cmp_lt_u16_e32 vcc, s95, v13
	v_cmp_gt_f16_e64 s[22:23], v34, v35
	v_cndmask_b32_e64 v4, v34, v35, s[22:23]
	s_and_b64 vcc, s[20:21], vcc
	v_cndmask_b32_e32 v34, v4, v56, vcc
; %bb.1543:                             ;   in Loop: Header=BB6_1413 Depth=2
	s_or_b64 exec, exec, s[78:79]
	v_mov_b32_e32 v35, v34
.LBB6_1544:                             ;   in Loop: Header=BB6_1413 Depth=2
	s_or_b64 exec, exec, s[24:25]
	v_mov_b32_e32 v37, v35
.LBB6_1545:                             ;   in Loop: Header=BB6_1413 Depth=2
	v_and_b32_e32 v4, 0x7fff, v29
	v_and_b32_e32 v13, 0x7fff, v32
	v_cmp_lt_u16_e64 s[20:21], s95, v4
	v_cmp_gt_u16_e64 s[22:23], s31, v13
	s_and_b64 s[78:79], s[20:21], s[22:23]
	s_mov_b64 s[24:25], -1
	s_and_b64 vcc, exec, s[18:19]
	s_xor_b64 s[78:79], s[78:79], -1
                                        ; implicit-def: $vgpr34
	s_cbranch_vccnz .LBB6_1551
; %bb.1546:                             ;   in Loop: Header=BB6_1413 Depth=2
	v_mov_b32_e32 v34, v32
	s_and_saveexec_b64 s[88:89], s[78:79]
	s_cbranch_execz .LBB6_1550
; %bb.1547:                             ;   in Loop: Header=BB6_1413 Depth=2
	s_or_b64 s[24:25], s[20:21], s[22:23]
	v_mov_b32_e32 v34, v29
	s_and_saveexec_b64 s[90:91], s[24:25]
; %bb.1548:                             ;   in Loop: Header=BB6_1413 Depth=2
	v_cmp_lt_u16_e32 vcc, s95, v13
	v_cmp_gt_f16_e64 s[24:25], v29, v32
	v_cndmask_b32_e64 v4, v32, v29, s[24:25]
	s_and_b64 vcc, s[20:21], vcc
	v_cndmask_b32_e32 v34, v4, v56, vcc
; %bb.1549:                             ;   in Loop: Header=BB6_1413 Depth=2
	s_or_b64 exec, exec, s[90:91]
.LBB6_1550:                             ;   in Loop: Header=BB6_1413 Depth=2
	s_or_b64 exec, exec, s[88:89]
	s_mov_b64 s[24:25], 0
.LBB6_1551:                             ;   in Loop: Header=BB6_1413 Depth=2
	s_andn2_b64 vcc, exec, s[24:25]
	s_cbranch_vccnz .LBB6_1557
; %bb.1552:                             ;   in Loop: Header=BB6_1413 Depth=2
	s_and_saveexec_b64 s[24:25], s[78:79]
	s_cbranch_execz .LBB6_1556
; %bb.1553:                             ;   in Loop: Header=BB6_1413 Depth=2
	s_or_b64 s[22:23], s[20:21], s[22:23]
	s_and_saveexec_b64 s[78:79], s[22:23]
; %bb.1554:                             ;   in Loop: Header=BB6_1413 Depth=2
	v_cmp_lt_u16_e32 vcc, s95, v13
	v_cmp_gt_f16_e64 s[22:23], v29, v32
	v_cndmask_b32_e64 v4, v29, v32, s[22:23]
	s_and_b64 vcc, s[20:21], vcc
	v_cndmask_b32_e32 v29, v4, v56, vcc
; %bb.1555:                             ;   in Loop: Header=BB6_1413 Depth=2
	s_or_b64 exec, exec, s[78:79]
	v_mov_b32_e32 v32, v29
.LBB6_1556:                             ;   in Loop: Header=BB6_1413 Depth=2
	s_or_b64 exec, exec, s[24:25]
	v_mov_b32_e32 v34, v32
.LBB6_1557:                             ;   in Loop: Header=BB6_1413 Depth=2
	v_and_b32_e32 v4, 0x7fff, v26
	v_and_b32_e32 v13, 0x7fff, v27
	v_cmp_lt_u16_e64 s[20:21], s95, v4
	v_cmp_gt_u16_e64 s[22:23], s31, v13
	s_and_b64 s[78:79], s[20:21], s[22:23]
	s_mov_b64 s[24:25], -1
	s_and_b64 vcc, exec, s[18:19]
	s_xor_b64 s[78:79], s[78:79], -1
                                        ; implicit-def: $vgpr29
	s_cbranch_vccnz .LBB6_1563
; %bb.1558:                             ;   in Loop: Header=BB6_1413 Depth=2
	v_mov_b32_e32 v29, v27
	s_and_saveexec_b64 s[88:89], s[78:79]
	s_cbranch_execz .LBB6_1562
; %bb.1559:                             ;   in Loop: Header=BB6_1413 Depth=2
	s_or_b64 s[24:25], s[20:21], s[22:23]
	v_mov_b32_e32 v29, v26
	s_and_saveexec_b64 s[90:91], s[24:25]
; %bb.1560:                             ;   in Loop: Header=BB6_1413 Depth=2
	v_cmp_lt_u16_e32 vcc, s95, v13
	v_cmp_gt_f16_e64 s[24:25], v26, v27
	v_cndmask_b32_e64 v4, v27, v26, s[24:25]
	s_and_b64 vcc, s[20:21], vcc
	v_cndmask_b32_e32 v29, v4, v56, vcc
; %bb.1561:                             ;   in Loop: Header=BB6_1413 Depth=2
	s_or_b64 exec, exec, s[90:91]
.LBB6_1562:                             ;   in Loop: Header=BB6_1413 Depth=2
	s_or_b64 exec, exec, s[88:89]
	s_mov_b64 s[24:25], 0
.LBB6_1563:                             ;   in Loop: Header=BB6_1413 Depth=2
	s_andn2_b64 vcc, exec, s[24:25]
	s_cbranch_vccnz .LBB6_1569
; %bb.1564:                             ;   in Loop: Header=BB6_1413 Depth=2
	s_and_saveexec_b64 s[24:25], s[78:79]
	s_cbranch_execz .LBB6_1568
; %bb.1565:                             ;   in Loop: Header=BB6_1413 Depth=2
	s_or_b64 s[22:23], s[20:21], s[22:23]
	s_and_saveexec_b64 s[78:79], s[22:23]
; %bb.1566:                             ;   in Loop: Header=BB6_1413 Depth=2
	v_cmp_lt_u16_e32 vcc, s95, v13
	v_cmp_gt_f16_e64 s[22:23], v26, v27
	v_cndmask_b32_e64 v4, v26, v27, s[22:23]
	s_and_b64 vcc, s[20:21], vcc
	v_cndmask_b32_e32 v26, v4, v56, vcc
; %bb.1567:                             ;   in Loop: Header=BB6_1413 Depth=2
	s_or_b64 exec, exec, s[78:79]
	v_mov_b32_e32 v27, v26
.LBB6_1568:                             ;   in Loop: Header=BB6_1413 Depth=2
	s_or_b64 exec, exec, s[24:25]
	v_mov_b32_e32 v29, v27
.LBB6_1569:                             ;   in Loop: Header=BB6_1413 Depth=2
	v_and_b32_e32 v4, 0x7fff, v22
	v_and_b32_e32 v13, 0x7fff, v24
	v_cmp_lt_u16_e64 s[20:21], s95, v4
	v_cmp_gt_u16_e64 s[22:23], s31, v13
	s_and_b64 s[78:79], s[20:21], s[22:23]
	s_mov_b64 s[24:25], -1
	s_and_b64 vcc, exec, s[18:19]
	s_xor_b64 s[78:79], s[78:79], -1
                                        ; implicit-def: $vgpr26
	s_cbranch_vccnz .LBB6_1575
; %bb.1570:                             ;   in Loop: Header=BB6_1413 Depth=2
	v_mov_b32_e32 v26, v24
	s_and_saveexec_b64 s[88:89], s[78:79]
	s_cbranch_execz .LBB6_1574
; %bb.1571:                             ;   in Loop: Header=BB6_1413 Depth=2
	s_or_b64 s[24:25], s[20:21], s[22:23]
	v_mov_b32_e32 v26, v22
	s_and_saveexec_b64 s[90:91], s[24:25]
; %bb.1572:                             ;   in Loop: Header=BB6_1413 Depth=2
	v_cmp_lt_u16_e32 vcc, s95, v13
	v_cmp_gt_f16_e64 s[24:25], v22, v24
	v_cndmask_b32_e64 v4, v24, v22, s[24:25]
	s_and_b64 vcc, s[20:21], vcc
	v_cndmask_b32_e32 v26, v4, v56, vcc
; %bb.1573:                             ;   in Loop: Header=BB6_1413 Depth=2
	s_or_b64 exec, exec, s[90:91]
.LBB6_1574:                             ;   in Loop: Header=BB6_1413 Depth=2
	s_or_b64 exec, exec, s[88:89]
	s_mov_b64 s[24:25], 0
.LBB6_1575:                             ;   in Loop: Header=BB6_1413 Depth=2
	s_andn2_b64 vcc, exec, s[24:25]
	s_cbranch_vccnz .LBB6_1581
; %bb.1576:                             ;   in Loop: Header=BB6_1413 Depth=2
	s_and_saveexec_b64 s[24:25], s[78:79]
	s_cbranch_execz .LBB6_1580
; %bb.1577:                             ;   in Loop: Header=BB6_1413 Depth=2
	s_or_b64 s[22:23], s[20:21], s[22:23]
	s_and_saveexec_b64 s[78:79], s[22:23]
; %bb.1578:                             ;   in Loop: Header=BB6_1413 Depth=2
	v_cmp_lt_u16_e32 vcc, s95, v13
	v_cmp_gt_f16_e64 s[22:23], v22, v24
	v_cndmask_b32_e64 v4, v22, v24, s[22:23]
	s_and_b64 vcc, s[20:21], vcc
	v_cndmask_b32_e32 v22, v4, v56, vcc
; %bb.1579:                             ;   in Loop: Header=BB6_1413 Depth=2
	s_or_b64 exec, exec, s[78:79]
	v_mov_b32_e32 v24, v22
.LBB6_1580:                             ;   in Loop: Header=BB6_1413 Depth=2
	s_or_b64 exec, exec, s[24:25]
	v_mov_b32_e32 v26, v24
.LBB6_1581:                             ;   in Loop: Header=BB6_1413 Depth=2
	v_and_b32_e32 v4, 0x7fff, v20
	v_and_b32_e32 v13, 0x7fff, v21
	v_cmp_lt_u16_e64 s[20:21], s95, v4
	v_cmp_gt_u16_e64 s[22:23], s31, v13
	s_and_b64 s[78:79], s[20:21], s[22:23]
	s_mov_b64 s[24:25], -1
	s_and_b64 vcc, exec, s[18:19]
	s_xor_b64 s[78:79], s[78:79], -1
                                        ; implicit-def: $vgpr22
	s_cbranch_vccnz .LBB6_1587
; %bb.1582:                             ;   in Loop: Header=BB6_1413 Depth=2
	v_mov_b32_e32 v22, v21
	s_and_saveexec_b64 s[88:89], s[78:79]
	s_cbranch_execz .LBB6_1586
; %bb.1583:                             ;   in Loop: Header=BB6_1413 Depth=2
	s_or_b64 s[24:25], s[20:21], s[22:23]
	v_mov_b32_e32 v22, v20
	s_and_saveexec_b64 s[90:91], s[24:25]
; %bb.1584:                             ;   in Loop: Header=BB6_1413 Depth=2
	v_cmp_lt_u16_e32 vcc, s95, v13
	v_cmp_gt_f16_e64 s[24:25], v20, v21
	v_cndmask_b32_e64 v4, v21, v20, s[24:25]
	s_and_b64 vcc, s[20:21], vcc
	v_cndmask_b32_e32 v22, v4, v56, vcc
; %bb.1585:                             ;   in Loop: Header=BB6_1413 Depth=2
	s_or_b64 exec, exec, s[90:91]
.LBB6_1586:                             ;   in Loop: Header=BB6_1413 Depth=2
	s_or_b64 exec, exec, s[88:89]
	s_mov_b64 s[24:25], 0
.LBB6_1587:                             ;   in Loop: Header=BB6_1413 Depth=2
	s_andn2_b64 vcc, exec, s[24:25]
	s_cbranch_vccnz .LBB6_1593
; %bb.1588:                             ;   in Loop: Header=BB6_1413 Depth=2
	s_and_saveexec_b64 s[24:25], s[78:79]
	s_cbranch_execz .LBB6_1592
; %bb.1589:                             ;   in Loop: Header=BB6_1413 Depth=2
	s_or_b64 s[22:23], s[20:21], s[22:23]
	s_and_saveexec_b64 s[78:79], s[22:23]
; %bb.1590:                             ;   in Loop: Header=BB6_1413 Depth=2
	v_cmp_lt_u16_e32 vcc, s95, v13
	v_cmp_gt_f16_e64 s[22:23], v20, v21
	v_cndmask_b32_e64 v4, v20, v21, s[22:23]
	s_and_b64 vcc, s[20:21], vcc
	v_cndmask_b32_e32 v20, v4, v56, vcc
; %bb.1591:                             ;   in Loop: Header=BB6_1413 Depth=2
	s_or_b64 exec, exec, s[78:79]
	v_mov_b32_e32 v21, v20
.LBB6_1592:                             ;   in Loop: Header=BB6_1413 Depth=2
	s_or_b64 exec, exec, s[24:25]
	v_mov_b32_e32 v22, v21
.LBB6_1593:                             ;   in Loop: Header=BB6_1413 Depth=2
	v_and_b32_e32 v4, 0x7fff, v17
	v_and_b32_e32 v13, 0x7fff, v18
	v_cmp_lt_u16_e64 s[20:21], s95, v4
	v_cmp_gt_u16_e64 s[22:23], s31, v13
	s_and_b64 s[24:25], s[20:21], s[22:23]
	s_mov_b64 s[78:79], -1
	s_and_b64 vcc, exec, s[18:19]
	s_xor_b64 s[24:25], s[24:25], -1
                                        ; implicit-def: $vgpr20
	s_cbranch_vccnz .LBB6_1599
; %bb.1594:                             ;   in Loop: Header=BB6_1413 Depth=2
	v_mov_b32_e32 v20, v18
	s_and_saveexec_b64 s[78:79], s[24:25]
	s_cbranch_execz .LBB6_1598
; %bb.1595:                             ;   in Loop: Header=BB6_1413 Depth=2
	s_or_b64 s[18:19], s[20:21], s[22:23]
	v_mov_b32_e32 v20, v17
	s_and_saveexec_b64 s[88:89], s[18:19]
; %bb.1596:                             ;   in Loop: Header=BB6_1413 Depth=2
	v_cmp_lt_u16_e32 vcc, s95, v13
	v_cmp_gt_f16_e64 s[18:19], v17, v18
	v_cndmask_b32_e64 v4, v18, v17, s[18:19]
	s_and_b64 vcc, s[20:21], vcc
	v_cndmask_b32_e32 v20, v4, v56, vcc
; %bb.1597:                             ;   in Loop: Header=BB6_1413 Depth=2
	s_or_b64 exec, exec, s[88:89]
.LBB6_1598:                             ;   in Loop: Header=BB6_1413 Depth=2
	s_or_b64 exec, exec, s[78:79]
	s_mov_b64 s[78:79], 0
.LBB6_1599:                             ;   in Loop: Header=BB6_1413 Depth=2
	s_andn2_b64 vcc, exec, s[78:79]
	s_cbranch_vccnz .LBB6_1412
; %bb.1600:                             ;   in Loop: Header=BB6_1413 Depth=2
	s_and_saveexec_b64 s[78:79], s[24:25]
	s_cbranch_execz .LBB6_1411
; %bb.1601:                             ;   in Loop: Header=BB6_1413 Depth=2
	s_or_b64 s[18:19], s[20:21], s[22:23]
	s_and_saveexec_b64 s[22:23], s[18:19]
	s_cbranch_execz .LBB6_1410
; %bb.1602:                             ;   in Loop: Header=BB6_1413 Depth=2
	v_cmp_lt_u16_e32 vcc, s95, v13
	v_cmp_gt_f16_e64 s[18:19], v17, v18
	v_cndmask_b32_e64 v4, v17, v18, s[18:19]
	s_and_b64 vcc, s[20:21], vcc
	v_cndmask_b32_e32 v17, v4, v56, vcc
	s_branch .LBB6_1410
.LBB6_1603:                             ;   in Loop: Header=BB6_877 Depth=1
	s_or_b64 exec, exec, s[76:77]
	buffer_load_dword v36, off, s[0:3], s33 offset:112 ; 4-byte Folded Reload
	buffer_load_dword v37, off, s[0:3], s33 offset:116 ; 4-byte Folded Reload
	buffer_load_dword v38, off, s[0:3], s33 offset:120 ; 4-byte Folded Reload
	buffer_load_dword v39, off, s[0:3], s33 offset:124 ; 4-byte Folded Reload
	buffer_load_dword v48, off, s[0:3], s33 offset:128 ; 4-byte Folded Reload
	buffer_load_dword v49, off, s[0:3], s33 offset:132 ; 4-byte Folded Reload
	buffer_load_dword v50, off, s[0:3], s33 offset:96 ; 4-byte Folded Reload
	buffer_load_dword v51, off, s[0:3], s33 offset:100 ; 4-byte Folded Reload
	buffer_load_dword v52, off, s[0:3], s33 offset:104 ; 4-byte Folded Reload
	buffer_load_dword v53, off, s[0:3], s33 offset:108 ; 4-byte Folded Reload
	buffer_load_dword v40, off, s[0:3], s33 offset:156 ; 4-byte Folded Reload
	buffer_load_dword v41, off, s[0:3], s33 offset:160 ; 4-byte Folded Reload
	buffer_load_dword v16, off, s[0:3], s33 offset:72 ; 4-byte Folded Reload
	buffer_load_dword v17, off, s[0:3], s33 offset:76 ; 4-byte Folded Reload
	buffer_load_dword v22, off, s[0:3], s33 offset:88 ; 4-byte Folded Reload
	buffer_load_dword v23, off, s[0:3], s33 offset:92 ; 4-byte Folded Reload
	buffer_load_dword v38, off, s[0:3], s33 offset:144 ; 4-byte Folded Reload
	buffer_load_dword v33, off, s[0:3], s33 offset:80 ; 4-byte Folded Reload
	buffer_load_dword v34, off, s[0:3], s33 offset:84 ; 4-byte Folded Reload
	buffer_load_dword v62, off, s[0:3], s33 offset:164 ; 4-byte Folded Reload
	buffer_load_dword v31, off, s[0:3], s33 offset:168 ; 4-byte Folded Reload
	buffer_load_dword v32, off, s[0:3], s33 offset:172 ; 4-byte Folded Reload
	buffer_load_dword v35, off, s[0:3], s33 offset:200 ; 4-byte Folded Reload
	buffer_load_dword v18, off, s[0:3], s33 offset:184 ; 4-byte Folded Reload
	buffer_load_dword v9, off, s[0:3], s33 offset:176 ; 4-byte Folded Reload
	buffer_load_dword v6, off, s[0:3], s33 offset:64 ; 4-byte Folded Reload
	buffer_load_dword v7, off, s[0:3], s33 offset:68 ; 4-byte Folded Reload
	buffer_load_dword v31, off, s[0:3], s33 offset:180 ; 4-byte Folded Reload
	buffer_load_dword v2, off, s[0:3], s33 offset:212 ; 4-byte Folded Reload
	buffer_load_dword v3, off, s[0:3], s33 offset:220 ; 4-byte Folded Reload
	buffer_load_dword v1, off, s[0:3], s33 offset:224 ; 4-byte Folded Reload
	v_mov_b32_e32 v10, v44
	v_mov_b32_e32 v11, v45
	;; [unrolled: 1-line block ×3, first 2 shown]
.LBB6_1604:                             ;   in Loop: Header=BB6_877 Depth=1
	s_or_b64 exec, exec, s[72:73]
	s_waitcnt vmcnt(0)
	v_lshlrev_b32_e32 v0, 11, v1
	v_cmp_ne_u32_e32 vcc, v31, v0
	s_and_b64 exec, exec, vcc
	s_cbranch_execz .LBB6_1616
; %bb.1605:                             ;   in Loop: Header=BB6_877 Depth=1
	v_lshlrev_b32_e32 v1, 6, v3
	v_sub_u32_e32 v1, v2, v1
	v_lshlrev_b32_e32 v2, 6, v15
	v_sub_u32_e32 v1, v1, v2
	v_ashrrev_i32_e32 v2, 31, v1
	v_lshrrev_b32_e32 v2, 26, v2
	v_add_u32_e32 v2, v1, v2
	v_and_b32_e32 v3, 0x7fffffc0, v2
	v_sub_u32_e32 v1, v1, v3
	v_lshlrev_b32_e32 v2, 1, v2
	v_and_b32_e32 v2, 0xffffff80, v2
	v_lshlrev_b32_e32 v1, 1, v1
	v_add3_u32 v0, v2, v1, v0
	v_sub_u32_e32 v12, v31, v0
	v_cmp_lt_i32_e32 vcc, 1, v12
	s_and_b64 exec, exec, vcc
	s_cbranch_execz .LBB6_1616
; %bb.1606:                             ;   in Loop: Header=BB6_877 Depth=1
	s_trap 2
	ds_read_b64 v[2:3], v0
	v_add_u32_e32 v4, v0, v4
	v_ashrrev_i32_e32 v5, 31, v4
	v_add_co_u32_e32 v0, vcc, v4, v6
	v_addc_co_u32_e32 v1, vcc, v5, v7, vcc
	s_waitcnt lgkmcnt(0)
	v_add_co_u32_e32 v2, vcc, v2, v4
	v_addc_co_u32_e32 v3, vcc, v3, v5, vcc
	v_add_co_u32_e32 v10, vcc, v4, v10
	s_bitcmp1_b32 s92, 0
	v_addc_co_u32_e32 v11, vcc, v5, v11, vcc
	s_mov_b64 s[24:25], 0
	s_cselect_b64 s[72:73], -1, 0
	s_branch .LBB6_1609
.LBB6_1607:                             ;   in Loop: Header=BB6_1609 Depth=2
	s_or_b64 exec, exec, s[76:77]
	v_mov_b32_e32 v15, v13
.LBB6_1608:                             ;   in Loop: Header=BB6_1609 Depth=2
	v_add_co_u32_e32 v0, vcc, v0, v18
	v_addc_co_u32_e32 v1, vcc, 0, v1, vcc
	v_add_co_u32_e32 v2, vcc, v2, v18
	v_addc_co_u32_e32 v3, vcc, 0, v3, vcc
	v_sub_u32_e32 v12, v12, v18
	v_cmp_gt_i32_e32 vcc, 2, v12
	flat_store_short v[10:11], v15 glc slc
	s_or_b64 s[24:25], vcc, s[24:25]
	v_add_co_u32_e32 v10, vcc, v10, v18
	v_addc_co_u32_e32 v11, vcc, 0, v11, vcc
	s_andn2_b64 exec, exec, s[24:25]
	s_cbranch_execz .LBB6_1616
.LBB6_1609:                             ;   Parent Loop BB6_877 Depth=1
                                        ; =>  This Inner Loop Header: Depth=2
	flat_load_ushort v13, v[2:3] glc slc
	flat_load_ushort v14, v[0:1] glc slc
	s_mov_b64 s[76:77], -1
	s_and_b64 vcc, exec, s[72:73]
                                        ; implicit-def: $vgpr15
	s_waitcnt vmcnt(0) lgkmcnt(0)
	v_and_b32_e32 v4, 0x7fff, v13
	v_and_b32_e32 v5, 0x7fff, v14
	v_cmp_gt_u16_e64 s[18:19], s31, v4
	v_cmp_lt_u16_e64 s[20:21], s95, v5
	s_and_b64 s[74:75], s[20:21], s[18:19]
	v_cmp_lt_u16_e64 s[22:23], s95, v4
	s_xor_b64 s[74:75], s[74:75], -1
	s_cbranch_vccz .LBB6_1613
; %bb.1610:                             ;   in Loop: Header=BB6_1609 Depth=2
	v_mov_b32_e32 v15, v13
	s_and_saveexec_b64 s[76:77], s[74:75]
; %bb.1611:                             ;   in Loop: Header=BB6_1609 Depth=2
	v_cmp_gt_f16_e32 vcc, v14, v13
	v_cndmask_b32_e32 v4, v13, v14, vcc
	s_and_b64 vcc, s[20:21], s[22:23]
	v_cndmask_b32_e32 v4, v4, v56, vcc
	s_or_b64 vcc, s[20:21], s[18:19]
	v_cndmask_b32_e32 v15, v14, v4, vcc
; %bb.1612:                             ;   in Loop: Header=BB6_1609 Depth=2
	s_or_b64 exec, exec, s[76:77]
	s_mov_b64 s[76:77], 0
.LBB6_1613:                             ;   in Loop: Header=BB6_1609 Depth=2
	s_andn2_b64 vcc, exec, s[76:77]
	s_cbranch_vccnz .LBB6_1608
; %bb.1614:                             ;   in Loop: Header=BB6_1609 Depth=2
	s_and_saveexec_b64 s[76:77], s[74:75]
	s_cbranch_execz .LBB6_1607
; %bb.1615:                             ;   in Loop: Header=BB6_1609 Depth=2
	v_cmp_gt_f16_e32 vcc, v14, v13
	v_cndmask_b32_e32 v4, v14, v13, vcc
	s_and_b64 vcc, s[20:21], s[22:23]
	v_cndmask_b32_e32 v4, v4, v56, vcc
	s_or_b64 vcc, s[20:21], s[18:19]
	v_cndmask_b32_e32 v13, v14, v4, vcc
	s_branch .LBB6_1607
.LBB6_1616:                             ;   in Loop: Header=BB6_877 Depth=1
	s_or_b64 exec, exec, s[62:63]
	v_cmp_ne_u32_e64 s[18:19], 0, v9
	s_and_saveexec_b64 s[20:21], s[10:11]
	s_cbranch_execz .LBB6_1635
.LBB6_1617:                             ;   in Loop: Header=BB6_877 Depth=1
	s_and_saveexec_b64 s[22:23], s[44:45]
	s_xor_b64 s[22:23], exec, s[22:23]
	s_cbranch_execz .LBB6_1632
; %bb.1618:                             ;   in Loop: Header=BB6_877 Depth=1
	s_and_saveexec_b64 s[24:25], s[12:13]
	s_cbranch_execz .LBB6_1631
; %bb.1619:                             ;   in Loop: Header=BB6_877 Depth=1
	s_mov_b64 s[72:73], exec
	v_mbcnt_lo_u32_b32 v0, s72, 0
	v_mbcnt_hi_u32_b32 v0, s73, v0
	v_cmp_eq_u32_e32 vcc, 0, v0
	s_waitcnt vmcnt(0) lgkmcnt(0)
	buffer_wbinvl1_vol
	s_and_saveexec_b64 s[62:63], vcc
	s_cbranch_execz .LBB6_1621
; %bb.1620:                             ;   in Loop: Header=BB6_877 Depth=1
	s_bcnt1_i32_b64 s72, s[72:73]
	v_mov_b32_e32 v31, s72
	ds_add_u64 v0, v[31:32]
	s_trap 2
.LBB6_1621:                             ;   in Loop: Header=BB6_877 Depth=1
	s_or_b64 exec, exec, s[62:63]
	s_trap 2
	ds_read_b64 v[0:1], v0
	s_waitcnt lgkmcnt(0)
	v_add_co_u32_e32 v22, vcc, v22, v55
	v_addc_co_u32_e32 v23, vcc, 0, v23, vcc
	v_cmp_lt_u64_e32 vcc, v[0:1], v[22:23]
	s_and_saveexec_b64 s[62:63], vcc
	s_cbranch_execz .LBB6_1630
; %bb.1622:                             ;   in Loop: Header=BB6_877 Depth=1
	s_mov_b32 s92, 0
	s_mov_b64 s[72:73], 0
                                        ; implicit-def: $sgpr74_sgpr75
                                        ; implicit-def: $sgpr76_sgpr77
	s_branch .LBB6_1624
.LBB6_1623:                             ;   in Loop: Header=BB6_1624 Depth=2
	s_or_b64 exec, exec, s[88:89]
	s_and_b64 s[78:79], exec, s[90:91]
	s_or_b64 s[72:73], s[78:79], s[72:73]
	s_andn2_b64 s[74:75], s[74:75], exec
	s_and_b64 s[78:79], s[76:77], exec
	s_or_b64 s[74:75], s[74:75], s[78:79]
	s_andn2_b64 exec, exec, s[72:73]
	s_cbranch_execz .LBB6_1628
.LBB6_1624:                             ;   Parent Loop BB6_877 Depth=1
                                        ; =>  This Inner Loop Header: Depth=2
	s_add_i32 s92, s92, 1
	s_cmpk_lg_i32 s92, 0x2710
	s_cselect_b64 s[78:79], -1, 0
	s_and_b64 vcc, exec, s[78:79]
	s_cbranch_vccz .LBB6_1626
; %bb.1625:                             ;   in Loop: Header=BB6_1624 Depth=2
	s_mov_b64 s[90:91], -1
	s_or_b64 s[76:77], s[76:77], exec
	s_and_saveexec_b64 s[88:89], s[78:79]
	s_cbranch_execz .LBB6_1623
	s_branch .LBB6_1627
.LBB6_1626:                             ;   in Loop: Header=BB6_1624 Depth=2
	s_trap 2
	ds_read_b64 v[0:1], v0
	s_andn2_b64 s[78:79], s[78:79], exec
	s_mov_b32 s92, 0
	s_waitcnt lgkmcnt(0)
	flat_load_dword v0, v[0:1] glc
	s_waitcnt vmcnt(0) lgkmcnt(0)
	buffer_wbinvl1_vol
	v_cmp_eq_u32_e32 vcc, 0, v0
	s_and_b64 s[88:89], vcc, exec
	s_or_b64 s[78:79], s[78:79], s[88:89]
	s_mov_b64 s[90:91], -1
	s_or_b64 s[76:77], s[76:77], exec
	s_and_saveexec_b64 s[88:89], s[78:79]
	s_cbranch_execz .LBB6_1623
.LBB6_1627:                             ;   in Loop: Header=BB6_1624 Depth=2
	s_sleep 1
	s_trap 2
	ds_read_b64 v[0:1], v0
	s_waitcnt lgkmcnt(0)
	s_andn2_b64 s[76:77], s[76:77], exec
	v_cmp_ge_u64_e32 vcc, v[0:1], v[22:23]
	s_orn2_b64 s[90:91], vcc, exec
	s_branch .LBB6_1623
.LBB6_1628:                             ;   in Loop: Header=BB6_877 Depth=1
	s_or_b64 exec, exec, s[72:73]
	s_and_saveexec_b64 s[72:73], s[74:75]
	s_xor_b64 s[72:73], exec, s[72:73]
	s_cbranch_execz .LBB6_1630
; %bb.1629:                             ;   in Loop: Header=BB6_877 Depth=1
	v_mov_b32_e32 v0, 1
	ds_write_b32 v0, v0
	s_trap 2
.LBB6_1630:                             ;   in Loop: Header=BB6_877 Depth=1
	s_or_b64 exec, exec, s[62:63]
	;;#ASMSTART
	s_wakeup
	;;#ASMEND
.LBB6_1631:                             ;   in Loop: Header=BB6_877 Depth=1
	s_or_b64 exec, exec, s[24:25]
.LBB6_1632:                             ;   in Loop: Header=BB6_877 Depth=1
	s_andn2_saveexec_b64 s[22:23], s[22:23]
	s_cbranch_execz .LBB6_1634
; %bb.1633:                             ;   in Loop: Header=BB6_877 Depth=1
	s_waitcnt vmcnt(0) lgkmcnt(0)
	buffer_wbinvl1_vol
	s_barrier
.LBB6_1634:                             ;   in Loop: Header=BB6_877 Depth=1
	s_or_b64 exec, exec, s[22:23]
.LBB6_1635:                             ;   in Loop: Header=BB6_877 Depth=1
	s_or_b64 exec, exec, s[20:21]
	v_and_b32_e32 v0, 16, v30
	v_cmp_ne_u32_e32 vcc, 0, v0
	s_and_b64 s[20:21], vcc, s[18:19]
	s_and_saveexec_b64 s[18:19], s[20:21]
	s_cbranch_execz .LBB6_1637
; %bb.1636:                             ;   in Loop: Header=BB6_877 Depth=1
	s_waitcnt vmcnt(0) lgkmcnt(0)
	buffer_wbinvl1_vol
.LBB6_1637:                             ;   in Loop: Header=BB6_877 Depth=1
	s_or_b64 exec, exec, s[18:19]
	v_and_b32_e32 v0, 32, v30
	v_cmp_ne_u32_e32 vcc, 0, v0
	s_and_saveexec_b64 s[18:19], vcc
	s_cbranch_execz .LBB6_1639
; %bb.1638:                             ;   in Loop: Header=BB6_877 Depth=1
	v_add_co_u32_e32 v52, vcc, 1, v52
	v_addc_co_u32_e32 v53, vcc, 0, v53, vcc
	flat_store_dwordx2 v[40:41], v[52:53]
.LBB6_1639:                             ;   in Loop: Header=BB6_877 Depth=1
	s_or_b64 exec, exec, s[18:19]
	v_mov_b32_e32 v10, v54
.LBB6_1640:                             ;   in Loop: Header=BB6_877 Depth=1
	s_or_b64 exec, exec, s[60:61]
	s_and_saveexec_b64 s[20:21], s[58:59]
	s_cbranch_execz .LBB6_876
; %bb.1641:                             ;   in Loop: Header=BB6_877 Depth=1
	v_and_b32_e32 v0, 4, v30
	v_cmp_ne_u32_e32 vcc, 0, v0
	s_and_saveexec_b64 s[22:23], vcc
	s_cbranch_execz .LBB6_1663
; %bb.1642:                             ;   in Loop: Header=BB6_877 Depth=1
	s_waitcnt lgkmcnt(0)
	v_add_co_u32_e32 v0, vcc, 1, v52
	v_addc_co_u32_e32 v1, vcc, 0, v53, vcc
	v_cmp_lt_u64_e32 vcc, v[46:47], v[0:1]
	s_and_saveexec_b64 s[24:25], vcc
	s_cbranch_execz .LBB6_1654
; %bb.1643:                             ;   in Loop: Header=BB6_877 Depth=1
	v_and_b32_e32 v2, 64, v30
	s_mov_b32 s92, 0
	v_cmp_eq_u32_e32 vcc, 0, v2
	s_mov_b64 s[58:59], 0
                                        ; implicit-def: $sgpr60_sgpr61
                                        ; implicit-def: $sgpr62_sgpr63
                                        ; implicit-def: $sgpr72_sgpr73
	s_branch .LBB6_1647
.LBB6_1644:                             ;   in Loop: Header=BB6_1647 Depth=2
	s_waitcnt vmcnt(0) lgkmcnt(0)
	v_cmp_ge_u64_e64 s[18:19], v[46:47], v[0:1]
	s_or_b64 s[78:79], s[78:79], exec
	s_orn2_b64 s[76:77], s[18:19], exec
.LBB6_1645:                             ;   in Loop: Header=BB6_1647 Depth=2
	s_or_b64 exec, exec, s[90:91]
	s_andn2_b64 s[18:19], s[72:73], exec
	s_and_b64 s[72:73], s[78:79], exec
	s_or_b64 s[72:73], s[18:19], s[72:73]
	s_andn2_b64 s[18:19], s[62:63], exec
	s_and_b64 s[62:63], s[76:77], exec
	s_or_b64 s[62:63], s[18:19], s[62:63]
.LBB6_1646:                             ;   in Loop: Header=BB6_1647 Depth=2
	s_or_b64 exec, exec, s[74:75]
	s_and_b64 s[18:19], exec, s[62:63]
	s_or_b64 s[58:59], s[18:19], s[58:59]
	s_andn2_b64 s[18:19], s[60:61], exec
	s_and_b64 s[60:61], s[72:73], exec
	s_or_b64 s[60:61], s[18:19], s[60:61]
	s_andn2_b64 exec, exec, s[58:59]
	s_cbranch_execz .LBB6_1651
.LBB6_1647:                             ;   Parent Loop BB6_877 Depth=1
                                        ; =>  This Inner Loop Header: Depth=2
	s_sleep 1
	s_waitcnt vmcnt(0) lgkmcnt(0)
	flat_load_dwordx2 v[46:47], v[40:41] glc
	s_or_b64 s[72:73], s[72:73], exec
	s_or_b64 s[62:63], s[62:63], exec
                                        ; implicit-def: $vgpr2
	s_and_saveexec_b64 s[74:75], vcc
	s_cbranch_execz .LBB6_1646
; %bb.1648:                             ;   in Loop: Header=BB6_1647 Depth=2
	s_cmpk_lt_i32 s92, 0x270f
	s_cselect_b64 s[88:89], -1, 0
	s_cmpk_gt_i32 s92, 0x270e
	s_mov_b64 s[76:77], -1
	s_cbranch_scc0 .LBB6_1650
; %bb.1649:                             ;   in Loop: Header=BB6_1647 Depth=2
	s_trap 2
	ds_read_b64 v[2:3], v0
	s_andn2_b64 s[88:89], s[88:89], exec
	s_mov_b32 s92, 0
	s_mov_b64 s[78:79], 0
	s_waitcnt vmcnt(0) lgkmcnt(0)
	flat_load_dword v2, v[2:3] glc
	s_waitcnt vmcnt(0) lgkmcnt(0)
	buffer_wbinvl1_vol
	v_cmp_eq_u32_e64 s[18:19], 0, v2
	s_and_b64 s[18:19], s[18:19], exec
	s_or_b64 s[88:89], s[88:89], s[18:19]
	s_and_saveexec_b64 s[90:91], s[88:89]
	s_cbranch_execz .LBB6_1645
	s_branch .LBB6_1644
.LBB6_1650:                             ;   in Loop: Header=BB6_1647 Depth=2
	s_add_i32 s92, s92, 1
	s_mov_b64 s[78:79], -1
                                        ; implicit-def: $vgpr2
	s_and_saveexec_b64 s[90:91], s[88:89]
	s_cbranch_execz .LBB6_1645
	s_branch .LBB6_1644
.LBB6_1651:                             ;   in Loop: Header=BB6_877 Depth=1
	s_or_b64 exec, exec, s[58:59]
	s_xor_b64 s[18:19], s[60:61], -1
	s_and_saveexec_b64 s[58:59], s[18:19]
	s_xor_b64 s[18:19], exec, s[58:59]
	s_cbranch_execz .LBB6_1653
; %bb.1652:                             ;   in Loop: Header=BB6_877 Depth=1
	v_or_b32_e32 v30, 64, v30
	s_waitcnt lgkmcnt(0)
	ds_write_b32 v0, v2
	s_trap 2
.LBB6_1653:                             ;   in Loop: Header=BB6_877 Depth=1
	s_or_b64 exec, exec, s[18:19]
.LBB6_1654:                             ;   in Loop: Header=BB6_877 Depth=1
	s_or_b64 exec, exec, s[24:25]
	v_and_b32_e32 v2, 0x100, v30
	v_cmp_ne_u32_e32 vcc, 0, v2
	v_and_b32_e32 v11, 7, v52
	s_mov_b64 s[18:19], -1
	;;#ASMSTART
	s_wakeup
	;;#ASMEND
                                        ; implicit-def: $vgpr2_vgpr3
	s_and_saveexec_b64 s[24:25], vcc
	s_cbranch_execz .LBB6_1658
; %bb.1655:                             ;   in Loop: Header=BB6_877 Depth=1
	v_mad_u64_u32 v[8:9], s[18:19], v11, 24, v[50:51]
	flat_load_dword v2, v[8:9]
	s_waitcnt vmcnt(0) lgkmcnt(0)
	v_cmp_ne_u32_e32 vcc, 1, v2
	v_cmp_eq_u32_e64 s[18:19], 1, v2
                                        ; implicit-def: $vgpr2_vgpr3
	s_and_saveexec_b64 s[58:59], s[18:19]
	s_cbranch_execz .LBB6_1657
; %bb.1656:                             ;   in Loop: Header=BB6_877 Depth=1
	flat_load_dword v2, v[8:9] offset:4 glc
	s_waitcnt vmcnt(0) lgkmcnt(0)
	v_ashrrev_i32_e32 v3, 31, v2
	v_lshrrev_b64 v[2:3], 1, v[2:3]
.LBB6_1657:                             ;   in Loop: Header=BB6_877 Depth=1
	s_or_b64 exec, exec, s[58:59]
	s_orn2_b64 s[18:19], vcc, exec
.LBB6_1658:                             ;   in Loop: Header=BB6_877 Depth=1
	s_or_b64 exec, exec, s[24:25]
	s_and_saveexec_b64 s[24:25], s[18:19]
; %bb.1659:                             ;   in Loop: Header=BB6_877 Depth=1
	v_mad_i64_i32 v[2:3], s[18:19], v11, v42, 0
; %bb.1660:                             ;   in Loop: Header=BB6_877 Depth=1
	s_or_b64 exec, exec, s[24:25]
	v_lshlrev_b64 v[2:3], 1, v[2:3]
	s_waitcnt vmcnt(0)
	v_add_co_u32_e32 v2, vcc, v16, v2
	v_addc_co_u32_e32 v3, vcc, v17, v3, vcc
	ds_write_b64 v0, v[2:3] offset:728
	v_and_b32_e32 v2, 0x2000, v30
	v_cmp_ne_u32_e32 vcc, 0, v2
	s_and_saveexec_b64 s[18:19], vcc
	s_cbranch_execz .LBB6_1662
; %bb.1661:                             ;   in Loop: Header=BB6_877 Depth=1
	ds_read_b64 v[2:3], v0 offset:872
	s_waitcnt lgkmcnt(0)
	v_add_co_u32_e32 v2, vcc, 1, v2
	v_addc_co_u32_e32 v3, vcc, 0, v3, vcc
	ds_write_b64 v0, v[2:3] offset:872
.LBB6_1662:                             ;   in Loop: Header=BB6_877 Depth=1
	s_or_b64 exec, exec, s[18:19]
	v_mov_b32_e32 v53, v1
	v_mov_b32_e32 v52, v0
.LBB6_1663:                             ;   in Loop: Header=BB6_877 Depth=1
	s_or_b64 exec, exec, s[22:23]
	s_and_saveexec_b64 s[18:19], s[10:11]
	s_cbranch_execz .LBB6_1682
; %bb.1664:                             ;   in Loop: Header=BB6_877 Depth=1
	s_and_saveexec_b64 s[22:23], s[44:45]
	s_xor_b64 s[22:23], exec, s[22:23]
	s_cbranch_execz .LBB6_1679
; %bb.1665:                             ;   in Loop: Header=BB6_877 Depth=1
	s_and_saveexec_b64 s[24:25], s[12:13]
	s_cbranch_execz .LBB6_1678
; %bb.1666:                             ;   in Loop: Header=BB6_877 Depth=1
	s_mov_b64 s[60:61], exec
	v_mbcnt_lo_u32_b32 v0, s60, 0
	v_mbcnt_hi_u32_b32 v0, s61, v0
	v_cmp_eq_u32_e32 vcc, 0, v0
	s_waitcnt vmcnt(0) lgkmcnt(0)
	buffer_wbinvl1_vol
	s_and_saveexec_b64 s[58:59], vcc
	s_cbranch_execz .LBB6_1668
; %bb.1667:                             ;   in Loop: Header=BB6_877 Depth=1
	s_bcnt1_i32_b64 s60, s[60:61]
	v_mov_b32_e32 v31, s60
	ds_add_u64 v0, v[31:32]
	s_trap 2
.LBB6_1668:                             ;   in Loop: Header=BB6_877 Depth=1
	s_or_b64 exec, exec, s[58:59]
	s_trap 2
	ds_read_b64 v[0:1], v0
	s_waitcnt lgkmcnt(0)
	v_add_co_u32_e32 v22, vcc, v22, v55
	v_addc_co_u32_e32 v23, vcc, 0, v23, vcc
	v_cmp_lt_u64_e32 vcc, v[0:1], v[22:23]
	s_and_saveexec_b64 s[58:59], vcc
	s_cbranch_execz .LBB6_1677
; %bb.1669:                             ;   in Loop: Header=BB6_877 Depth=1
	s_mov_b32 s88, 0
	s_mov_b64 s[60:61], 0
                                        ; implicit-def: $sgpr62_sgpr63
                                        ; implicit-def: $sgpr72_sgpr73
	s_branch .LBB6_1671
.LBB6_1670:                             ;   in Loop: Header=BB6_1671 Depth=2
	s_or_b64 exec, exec, s[76:77]
	s_and_b64 s[74:75], exec, s[78:79]
	s_or_b64 s[60:61], s[74:75], s[60:61]
	s_andn2_b64 s[62:63], s[62:63], exec
	s_and_b64 s[74:75], s[72:73], exec
	s_or_b64 s[62:63], s[62:63], s[74:75]
	s_andn2_b64 exec, exec, s[60:61]
	s_cbranch_execz .LBB6_1675
.LBB6_1671:                             ;   Parent Loop BB6_877 Depth=1
                                        ; =>  This Inner Loop Header: Depth=2
	s_add_i32 s88, s88, 1
	s_cmpk_lg_i32 s88, 0x2710
	s_cselect_b64 s[74:75], -1, 0
	s_and_b64 vcc, exec, s[74:75]
	s_cbranch_vccz .LBB6_1673
; %bb.1672:                             ;   in Loop: Header=BB6_1671 Depth=2
	s_mov_b64 s[78:79], -1
	s_or_b64 s[72:73], s[72:73], exec
	s_and_saveexec_b64 s[76:77], s[74:75]
	s_cbranch_execz .LBB6_1670
	s_branch .LBB6_1674
.LBB6_1673:                             ;   in Loop: Header=BB6_1671 Depth=2
	s_trap 2
	ds_read_b64 v[0:1], v0
	s_andn2_b64 s[74:75], s[74:75], exec
	s_mov_b32 s88, 0
	s_waitcnt lgkmcnt(0)
	flat_load_dword v0, v[0:1] glc
	s_waitcnt vmcnt(0) lgkmcnt(0)
	buffer_wbinvl1_vol
	v_cmp_eq_u32_e32 vcc, 0, v0
	s_and_b64 s[76:77], vcc, exec
	s_or_b64 s[74:75], s[74:75], s[76:77]
	s_mov_b64 s[78:79], -1
	s_or_b64 s[72:73], s[72:73], exec
	s_and_saveexec_b64 s[76:77], s[74:75]
	s_cbranch_execz .LBB6_1670
.LBB6_1674:                             ;   in Loop: Header=BB6_1671 Depth=2
	s_sleep 1
	s_trap 2
	ds_read_b64 v[0:1], v0
	s_waitcnt lgkmcnt(0)
	s_andn2_b64 s[72:73], s[72:73], exec
	v_cmp_ge_u64_e32 vcc, v[0:1], v[22:23]
	s_orn2_b64 s[78:79], vcc, exec
	s_branch .LBB6_1670
.LBB6_1675:                             ;   in Loop: Header=BB6_877 Depth=1
	s_or_b64 exec, exec, s[60:61]
	s_and_saveexec_b64 s[60:61], s[62:63]
	s_xor_b64 s[60:61], exec, s[60:61]
	s_cbranch_execz .LBB6_1677
; %bb.1676:                             ;   in Loop: Header=BB6_877 Depth=1
	v_mov_b32_e32 v0, 1
	ds_write_b32 v0, v0
	s_trap 2
.LBB6_1677:                             ;   in Loop: Header=BB6_877 Depth=1
	s_or_b64 exec, exec, s[58:59]
	;;#ASMSTART
	s_wakeup
	;;#ASMEND
.LBB6_1678:                             ;   in Loop: Header=BB6_877 Depth=1
	s_or_b64 exec, exec, s[24:25]
.LBB6_1679:                             ;   in Loop: Header=BB6_877 Depth=1
	s_andn2_saveexec_b64 s[22:23], s[22:23]
	s_cbranch_execz .LBB6_1681
; %bb.1680:                             ;   in Loop: Header=BB6_877 Depth=1
	s_waitcnt vmcnt(0) lgkmcnt(0)
	buffer_wbinvl1_vol
	s_barrier
.LBB6_1681:                             ;   in Loop: Header=BB6_877 Depth=1
	s_or_b64 exec, exec, s[22:23]
.LBB6_1682:                             ;   in Loop: Header=BB6_877 Depth=1
	s_or_b64 exec, exec, s[18:19]
	s_trap 2
	ds_read_b32 v0, v0
	v_sub_u32_e32 v1, v60, v10
	v_min_i32_e32 v1, v54, v1
	v_cmp_lt_i32_e32 vcc, 0, v1
	s_waitcnt lgkmcnt(0)
	v_readfirstlane_b32 s18, v0
	s_cmp_eq_u32 s18, 0
	s_cselect_b64 s[18:19], -1, 0
	v_and_b32_e32 v0, 16, v30
	s_and_b64 s[18:19], vcc, s[18:19]
	v_cmp_ne_u32_e32 vcc, 0, v0
	s_and_b64 s[22:23], vcc, s[18:19]
	s_and_saveexec_b64 s[18:19], s[22:23]
	s_cbranch_execz .LBB6_1684
; %bb.1683:                             ;   in Loop: Header=BB6_877 Depth=1
	s_waitcnt vmcnt(0)
	buffer_wbinvl1_vol
.LBB6_1684:                             ;   in Loop: Header=BB6_877 Depth=1
	s_or_b64 exec, exec, s[18:19]
	v_and_b32_e32 v0, 32, v30
	v_cmp_ne_u32_e32 vcc, 0, v0
	s_and_saveexec_b64 s[18:19], vcc
	s_cbranch_execz .LBB6_875
; %bb.1685:                             ;   in Loop: Header=BB6_877 Depth=1
	v_add_co_u32_e32 v52, vcc, 1, v52
	v_addc_co_u32_e32 v53, vcc, 0, v53, vcc
	flat_store_dwordx2 v[40:41], v[52:53]
	s_branch .LBB6_875
.LBB6_1686:
	s_or_b64 exec, exec, s[46:47]
	buffer_load_dword v54, off, s[0:3], s33 offset:148 ; 4-byte Folded Reload
	buffer_load_dword v55, off, s[0:3], s33 offset:152 ; 4-byte Folded Reload
	;; [unrolled: 1-line block ×3, first 2 shown]
	v_mov_b32_e32 v56, v38
.LBB6_1687:
	s_or_b64 exec, exec, s[42:43]
.LBB6_1688:
	s_or_b64 exec, exec, s[26:27]
                                        ; implicit-def: $vgpr0_vgpr1
                                        ; implicit-def: $vgpr48_vgpr49
                                        ; implicit-def: $vgpr36_vgpr37
                                        ; kill: killed $vgpr0_vgpr1
                                        ; implicit-def: $vgpr42
                                        ; implicit-def: $vgpr46_vgpr47
                                        ; implicit-def: $vgpr40_vgpr41
                                        ; implicit-def: $vgpr43
                                        ; implicit-def: $vgpr21
                                        ; implicit-def: $vgpr33
                                        ; implicit-def: $vgpr0_vgpr1
                                        ; kill: killed $vgpr0_vgpr1
.LBB6_1689:
	s_andn2_saveexec_b64 s[22:23], s[40:41]
	s_cbranch_execz .LBB6_1861
; %bb.1690:
	s_waitcnt vmcnt(0)
	v_mov_b32_e32 v22, 0
	v_cmp_ne_u64_e32 vcc, 0, v[36:37]
	v_mov_b32_e32 v23, 0
	s_and_saveexec_b64 s[24:25], vcc
	s_cbranch_execz .LBB6_1860
; %bb.1691:
	v_and_b32_e32 v0, 63, v31
	v_cmp_eq_u32_e64 s[12:13], 0, v0
	v_and_b32_e32 v0, 63, v43
	s_trap 2
	v_cmp_eq_u32_e64 s[14:15], 0, v0
	v_cmp_lt_u32_e64 s[16:17], v0, v21
	v_lshrrev_b32_e32 v4, 6, v43
	buffer_store_dword v0, off, s[0:3], s33 offset:176 ; 4-byte Folded Spill
	v_lshlrev_b32_e32 v0, 4, v0
	v_lshlrev_b32_e32 v2, 1, v62
	v_and_b32_e32 v1, 0x7f80, v2
	buffer_load_dword v2, off, s[0:3], s33 offset:64 ; 4-byte Folded Reload
	buffer_load_dword v3, off, s[0:3], s33 offset:68 ; 4-byte Folded Reload
	v_lshl_or_b32 v26, v4, 13, v0
	buffer_store_dword v4, off, s[0:3], s33 offset:60 ; 4-byte Folded Spill
	v_mov_b32_e32 v4, v36
	v_mov_b32_e32 v5, v37
	buffer_store_dword v4, off, s[0:3], s33 offset:112 ; 4-byte Folded Spill
	s_nop 0
	buffer_store_dword v5, off, s[0:3], s33 offset:116 ; 4-byte Folded Spill
	buffer_store_dword v6, off, s[0:3], s33 offset:120 ; 4-byte Folded Spill
	;; [unrolled: 1-line block ×4, first 2 shown]
	s_nop 0
	buffer_store_dword v49, off, s[0:3], s33 offset:132 ; 4-byte Folded Spill
	buffer_load_dword v20, off, s[0:3], s33 offset:72 ; 4-byte Folded Reload
	buffer_load_dword v21, off, s[0:3], s33 offset:76 ; 4-byte Folded Reload
	s_lshr_b32 s6, s30, 27
	s_add_i32 s30, s30, s6
	v_cmp_eq_u32_e32 vcc, 64, v62
	v_lshrrev_b32_e32 v19, 6, v62
	v_mov_b32_e32 v22, 0
	s_ashr_i32 s94, s30, 5
	v_cmp_ge_u32_e64 s[6:7], v43, v62
	v_cmp_ne_u32_e64 s[10:11], 64, v62
	v_cmp_ne_u32_sdwa s[26:27], v62, v56 src0_sel:DWORD src1_sel:WORD_0
	v_mov_b32_e32 v17, 0
	v_lshlrev_b32_e32 v18, 13, v19
	v_lshlrev_b32_e32 v27, 11, v19
	s_mov_b64 s[40:41], 0
	v_mov_b32_e32 v23, 0
	v_mov_b32_e32 v35, 1
	s_xor_b64 s[42:43], vcc, -1
	s_movk_i32 s95, 0x1000
	buffer_store_dword v54, off, s[0:3], s33 offset:148 ; 4-byte Folded Spill
	s_nop 0
	buffer_store_dword v55, off, s[0:3], s33 offset:152 ; 4-byte Folded Spill
	buffer_store_dword v43, off, s[0:3], s33 offset:140 ; 4-byte Folded Spill
	;; [unrolled: 1-line block ×5, first 2 shown]
	s_nop 0
	buffer_store_dword v34, off, s[0:3], s33 offset:84 ; 4-byte Folded Spill
	s_waitcnt vmcnt(0)
	v_cmp_ne_u64_e64 s[18:19], 0, v[2:3]
	v_mov_b32_e32 v2, 0
	v_mov_b32_e32 v3, 0
	s_branch .LBB6_1695
.LBB6_1692:                             ;   in Loop: Header=BB6_1695 Depth=1
	s_or_b64 exec, exec, s[44:45]
	v_add_co_u32_e32 v52, vcc, 1, v52
	v_addc_co_u32_e32 v53, vcc, 0, v53, vcc
	flat_store_dwordx2 v[40:41], v[52:53]
.LBB6_1693:                             ;   in Loop: Header=BB6_1695 Depth=1
	s_or_b64 exec, exec, s[20:21]
.LBB6_1694:                             ;   in Loop: Header=BB6_1695 Depth=1
	s_or_b64 exec, exec, s[46:47]
	s_waitcnt vmcnt(0)
	v_add_co_u32_e32 v2, vcc, v2, v33
	v_addc_co_u32_e32 v3, vcc, 0, v3, vcc
	v_cmp_ge_u64_e32 vcc, v[2:3], v[36:37]
	s_or_b64 s[40:41], vcc, s[40:41]
	s_andn2_b64 exec, exec, s[40:41]
	s_cbranch_execz .LBB6_1859
.LBB6_1695:                             ; =>This Loop Header: Depth=1
                                        ;     Child Loop BB6_1704 Depth 2
                                        ;     Child Loop BB6_1728 Depth 2
	;; [unrolled: 1-line block ×10, first 2 shown]
	v_sub_co_u32_e32 v4, vcc, v36, v2
	v_subb_co_u32_e32 v5, vcc, v37, v3, vcc
	v_cmp_lt_u64_e32 vcc, v[33:34], v[4:5]
	v_cndmask_b32_e64 v11, v5, 0, vcc
	v_cndmask_b32_e32 v10, v4, v33, vcc
	v_cmp_eq_u64_e32 vcc, 0, v[10:11]
	v_add_u32_e32 v0, 15, v10
	v_and_b32_e32 v0, 0x3ffffff0, v0
	s_or_b64 s[44:45], s[6:7], vcc
	v_max_i32_e32 v28, s94, v0
	s_xor_b64 s[20:21], s[44:45], -1
	v_mov_b32_e32 v0, 0
	s_and_saveexec_b64 s[46:47], s[20:21]
	s_cbranch_execz .LBB6_1812
; %bb.1696:                             ;   in Loop: Header=BB6_1695 Depth=1
	s_and_saveexec_b64 s[20:21], s[4:5]
	s_cbranch_execz .LBB6_1698
; %bb.1697:                             ;   in Loop: Header=BB6_1695 Depth=1
	s_trap 2
	ds_read_b64 v[4:5], v0
	v_lshlrev_b64 v[6:7], 1, v[48:49]
	v_mov_b32_e32 v16, v17
	s_waitcnt lgkmcnt(0)
	v_add_co_u32_e32 v0, vcc, v4, v6
	v_addc_co_u32_e32 v6, vcc, v5, v7, vcc
	v_lshlrev_b64 v[4:5], 1, v[2:3]
	ds_write_b64 v0, v[16:17]
	v_add_co_u32_e32 v4, vcc, v0, v4
	v_addc_co_u32_e32 v5, vcc, v6, v5, vcc
	ds_write_b64 v0, v[4:5]
.LBB6_1698:                             ;   in Loop: Header=BB6_1695 Depth=1
	s_or_b64 exec, exec, s[20:21]
	v_and_b32_e32 v0, 8, v30
	v_min_u32_e32 v28, v28, v10
	v_cmp_ne_u32_e32 vcc, 0, v0
	s_and_saveexec_b64 s[56:57], vcc
	s_cbranch_execz .LBB6_1720
; %bb.1699:                             ;   in Loop: Header=BB6_1695 Depth=1
	v_add_co_u32_e32 v4, vcc, 8, v46
	v_addc_co_u32_e32 v5, vcc, 0, v47, vcc
	s_waitcnt lgkmcnt(0)
	v_add_co_u32_e32 v11, vcc, 1, v52
	v_addc_co_u32_e32 v12, vcc, 0, v53, vcc
	v_cmp_lt_u64_e32 vcc, v[4:5], v[11:12]
	s_and_saveexec_b64 s[58:59], vcc
	s_cbranch_execz .LBB6_1711
; %bb.1700:                             ;   in Loop: Header=BB6_1695 Depth=1
	v_and_b32_e32 v0, 64, v30
	s_mov_b32 s30, 0
	v_cmp_eq_u32_e32 vcc, 0, v0
	s_mov_b64 s[60:61], 0
                                        ; implicit-def: $sgpr62_sgpr63
                                        ; implicit-def: $sgpr72_sgpr73
                                        ; implicit-def: $sgpr74_sgpr75
	s_branch .LBB6_1704
.LBB6_1701:                             ;   in Loop: Header=BB6_1704 Depth=2
	s_waitcnt vmcnt(0) lgkmcnt(0)
	v_add_co_u32_e64 v4, s[20:21], 8, v46
	v_addc_co_u32_e64 v5, s[20:21], 0, v47, s[20:21]
	v_cmp_ge_u64_e64 s[20:21], v[4:5], v[11:12]
	s_or_b64 s[88:89], s[88:89], exec
	s_orn2_b64 s[78:79], s[20:21], exec
.LBB6_1702:                             ;   in Loop: Header=BB6_1704 Depth=2
	s_or_b64 exec, exec, s[92:93]
	s_andn2_b64 s[20:21], s[74:75], exec
	s_and_b64 s[74:75], s[88:89], exec
	s_or_b64 s[74:75], s[20:21], s[74:75]
	s_andn2_b64 s[20:21], s[72:73], exec
	s_and_b64 s[72:73], s[78:79], exec
	s_or_b64 s[72:73], s[20:21], s[72:73]
.LBB6_1703:                             ;   in Loop: Header=BB6_1704 Depth=2
	s_or_b64 exec, exec, s[76:77]
	s_and_b64 s[20:21], exec, s[72:73]
	s_or_b64 s[60:61], s[20:21], s[60:61]
	s_andn2_b64 s[20:21], s[62:63], exec
	s_and_b64 s[62:63], s[74:75], exec
	s_or_b64 s[62:63], s[20:21], s[62:63]
	s_andn2_b64 exec, exec, s[60:61]
	s_cbranch_execz .LBB6_1708
.LBB6_1704:                             ;   Parent Loop BB6_1695 Depth=1
                                        ; =>  This Inner Loop Header: Depth=2
	s_sleep 1
	s_waitcnt vmcnt(0) lgkmcnt(0)
	flat_load_dwordx2 v[46:47], v[40:41] glc
	s_or_b64 s[74:75], s[74:75], exec
	s_or_b64 s[72:73], s[72:73], exec
                                        ; implicit-def: $vgpr0
	s_and_saveexec_b64 s[76:77], vcc
	s_cbranch_execz .LBB6_1703
; %bb.1705:                             ;   in Loop: Header=BB6_1704 Depth=2
	s_cmpk_lt_i32 s30, 0x270f
	s_cselect_b64 s[90:91], -1, 0
	s_cmpk_gt_i32 s30, 0x270e
	s_mov_b64 s[78:79], -1
	s_cbranch_scc0 .LBB6_1707
; %bb.1706:                             ;   in Loop: Header=BB6_1704 Depth=2
	s_trap 2
	ds_read_b64 v[4:5], v0
	s_andn2_b64 s[90:91], s[90:91], exec
	s_mov_b32 s30, 0
	s_mov_b64 s[88:89], 0
	s_waitcnt vmcnt(0) lgkmcnt(0)
	flat_load_dword v0, v[4:5] glc
	s_waitcnt vmcnt(0) lgkmcnt(0)
	buffer_wbinvl1_vol
	v_cmp_eq_u32_e64 s[20:21], 0, v0
	s_and_b64 s[20:21], s[20:21], exec
	s_or_b64 s[90:91], s[90:91], s[20:21]
	s_and_saveexec_b64 s[92:93], s[90:91]
	s_cbranch_execz .LBB6_1702
	s_branch .LBB6_1701
.LBB6_1707:                             ;   in Loop: Header=BB6_1704 Depth=2
	s_add_i32 s30, s30, 1
	s_mov_b64 s[88:89], -1
                                        ; implicit-def: $vgpr0
	s_and_saveexec_b64 s[92:93], s[90:91]
	s_cbranch_execz .LBB6_1702
	s_branch .LBB6_1701
.LBB6_1708:                             ;   in Loop: Header=BB6_1695 Depth=1
	s_or_b64 exec, exec, s[60:61]
	s_xor_b64 s[20:21], s[62:63], -1
	s_and_saveexec_b64 s[60:61], s[20:21]
	s_xor_b64 s[20:21], exec, s[60:61]
	s_cbranch_execz .LBB6_1710
; %bb.1709:                             ;   in Loop: Header=BB6_1695 Depth=1
	v_or_b32_e32 v30, 64, v30
	s_waitcnt lgkmcnt(0)
	ds_write_b32 v0, v0
	s_trap 2
.LBB6_1710:                             ;   in Loop: Header=BB6_1695 Depth=1
	s_or_b64 exec, exec, s[20:21]
.LBB6_1711:                             ;   in Loop: Header=BB6_1695 Depth=1
	s_or_b64 exec, exec, s[58:59]
	v_and_b32_e32 v0, 0x100, v30
	v_cmp_ne_u32_e32 vcc, 0, v0
	v_and_b32_e32 v15, 7, v52
	s_mov_b64 s[20:21], -1
	;;#ASMSTART
	s_wakeup
	;;#ASMEND
                                        ; implicit-def: $vgpr8_vgpr9
	s_and_saveexec_b64 s[58:59], vcc
	s_cbranch_execz .LBB6_1715
; %bb.1712:                             ;   in Loop: Header=BB6_1695 Depth=1
	v_mad_u64_u32 v[13:14], s[20:21], v15, 24, v[50:51]
	v_lshlrev_b32_e32 v16, 1, v28
                                        ; implicit-def: $vgpr8_vgpr9
	flat_load_dword v4, v[13:14]
	s_nop 0
	flat_store_dwordx2 v[13:14], v[16:17] offset:8
	s_waitcnt vmcnt(0) lgkmcnt(0)
	v_cmp_ne_u32_e32 vcc, 1, v4
	v_cmp_eq_u32_e64 s[20:21], 1, v4
	s_and_saveexec_b64 s[60:61], s[20:21]
	s_cbranch_execz .LBB6_1714
; %bb.1713:                             ;   in Loop: Header=BB6_1695 Depth=1
	flat_load_dword v4, v[13:14] offset:4 glc
	s_waitcnt vmcnt(0) lgkmcnt(0)
	v_ashrrev_i32_e32 v5, 31, v4
	v_lshrrev_b64 v[8:9], 1, v[4:5]
.LBB6_1714:                             ;   in Loop: Header=BB6_1695 Depth=1
	s_or_b64 exec, exec, s[60:61]
	s_orn2_b64 s[20:21], vcc, exec
.LBB6_1715:                             ;   in Loop: Header=BB6_1695 Depth=1
	s_or_b64 exec, exec, s[58:59]
	s_and_saveexec_b64 s[58:59], s[20:21]
; %bb.1716:                             ;   in Loop: Header=BB6_1695 Depth=1
	v_mad_i64_i32 v[8:9], s[20:21], v15, v42, 0
; %bb.1717:                             ;   in Loop: Header=BB6_1695 Depth=1
	s_or_b64 exec, exec, s[58:59]
	v_lshlrev_b64 v[4:5], 1, v[8:9]
	v_add_co_u32_e32 v4, vcc, v20, v4
	v_addc_co_u32_e32 v5, vcc, v21, v5, vcc
	ds_write_b64 v0, v[4:5] offset:784
	v_and_b32_e32 v0, 0x2000, v30
	v_cmp_ne_u32_e32 vcc, 0, v0
	s_and_saveexec_b64 s[20:21], vcc
	s_cbranch_execz .LBB6_1719
; %bb.1718:                             ;   in Loop: Header=BB6_1695 Depth=1
	ds_read_b64 v[4:5], v0 offset:872
	s_waitcnt lgkmcnt(0)
	v_add_co_u32_e32 v4, vcc, 1, v4
	v_addc_co_u32_e32 v5, vcc, 0, v5, vcc
	ds_write_b64 v0, v[4:5] offset:872
.LBB6_1719:                             ;   in Loop: Header=BB6_1695 Depth=1
	s_or_b64 exec, exec, s[20:21]
	v_mov_b32_e32 v53, v12
	v_mov_b32_e32 v52, v11
.LBB6_1720:                             ;   in Loop: Header=BB6_1695 Depth=1
	s_or_b64 exec, exec, s[56:57]
	s_and_saveexec_b64 s[20:21], s[10:11]
	s_cbranch_execz .LBB6_1739
; %bb.1721:                             ;   in Loop: Header=BB6_1695 Depth=1
	s_and_saveexec_b64 s[56:57], s[26:27]
	s_xor_b64 s[56:57], exec, s[56:57]
	s_cbranch_execz .LBB6_1736
; %bb.1722:                             ;   in Loop: Header=BB6_1695 Depth=1
	s_and_saveexec_b64 s[58:59], s[12:13]
	s_cbranch_execz .LBB6_1735
; %bb.1723:                             ;   in Loop: Header=BB6_1695 Depth=1
	s_mov_b64 s[62:63], exec
	v_mbcnt_lo_u32_b32 v0, s62, 0
	v_mbcnt_hi_u32_b32 v0, s63, v0
	v_cmp_eq_u32_e32 vcc, 0, v0
	s_waitcnt vmcnt(0) lgkmcnt(0)
	buffer_wbinvl1_vol
	s_and_saveexec_b64 s[60:61], vcc
	s_cbranch_execz .LBB6_1725
; %bb.1724:                             ;   in Loop: Header=BB6_1695 Depth=1
	s_bcnt1_i32_b64 s62, s[62:63]
	v_mov_b32_e32 v16, s62
	ds_add_u64 v0, v[16:17]
	s_trap 2
.LBB6_1725:                             ;   in Loop: Header=BB6_1695 Depth=1
	s_or_b64 exec, exec, s[60:61]
	s_trap 2
	ds_read_b64 v[4:5], v0
	s_waitcnt lgkmcnt(0)
	v_add_co_u32_e32 v22, vcc, v22, v19
	v_addc_co_u32_e32 v23, vcc, 0, v23, vcc
	v_cmp_lt_u64_e32 vcc, v[4:5], v[22:23]
	s_and_saveexec_b64 s[60:61], vcc
	s_cbranch_execz .LBB6_1734
; %bb.1726:                             ;   in Loop: Header=BB6_1695 Depth=1
	s_mov_b32 s90, 0
	s_mov_b64 s[62:63], 0
                                        ; implicit-def: $sgpr72_sgpr73
                                        ; implicit-def: $sgpr74_sgpr75
	s_branch .LBB6_1728
.LBB6_1727:                             ;   in Loop: Header=BB6_1728 Depth=2
	s_or_b64 exec, exec, s[78:79]
	s_and_b64 s[76:77], exec, s[88:89]
	s_or_b64 s[62:63], s[76:77], s[62:63]
	s_andn2_b64 s[72:73], s[72:73], exec
	s_and_b64 s[76:77], s[74:75], exec
	s_or_b64 s[72:73], s[72:73], s[76:77]
	s_andn2_b64 exec, exec, s[62:63]
	s_cbranch_execz .LBB6_1732
.LBB6_1728:                             ;   Parent Loop BB6_1695 Depth=1
                                        ; =>  This Inner Loop Header: Depth=2
	s_add_i32 s90, s90, 1
	s_cmpk_lg_i32 s90, 0x2710
	s_cselect_b64 s[76:77], -1, 0
	s_and_b64 vcc, exec, s[76:77]
	s_cbranch_vccz .LBB6_1730
; %bb.1729:                             ;   in Loop: Header=BB6_1728 Depth=2
	s_mov_b64 s[88:89], -1
	s_or_b64 s[74:75], s[74:75], exec
	s_and_saveexec_b64 s[78:79], s[76:77]
	s_cbranch_execz .LBB6_1727
	s_branch .LBB6_1731
.LBB6_1730:                             ;   in Loop: Header=BB6_1728 Depth=2
	s_trap 2
	ds_read_b64 v[4:5], v0
	s_andn2_b64 s[76:77], s[76:77], exec
	s_mov_b32 s90, 0
	s_waitcnt lgkmcnt(0)
	flat_load_dword v0, v[4:5] glc
	s_waitcnt vmcnt(0) lgkmcnt(0)
	buffer_wbinvl1_vol
	v_cmp_eq_u32_e32 vcc, 0, v0
	s_and_b64 s[78:79], vcc, exec
	s_or_b64 s[76:77], s[76:77], s[78:79]
	s_mov_b64 s[88:89], -1
	s_or_b64 s[74:75], s[74:75], exec
	s_and_saveexec_b64 s[78:79], s[76:77]
	s_cbranch_execz .LBB6_1727
.LBB6_1731:                             ;   in Loop: Header=BB6_1728 Depth=2
	s_sleep 1
	s_trap 2
	ds_read_b64 v[4:5], v0
	s_waitcnt lgkmcnt(0)
	s_andn2_b64 s[74:75], s[74:75], exec
	v_cmp_ge_u64_e32 vcc, v[4:5], v[22:23]
	s_orn2_b64 s[88:89], vcc, exec
	s_branch .LBB6_1727
.LBB6_1732:                             ;   in Loop: Header=BB6_1695 Depth=1
	s_or_b64 exec, exec, s[62:63]
	s_and_saveexec_b64 s[62:63], s[72:73]
	s_xor_b64 s[62:63], exec, s[62:63]
	s_cbranch_execz .LBB6_1734
; %bb.1733:                             ;   in Loop: Header=BB6_1695 Depth=1
	ds_write_b32 v0, v35
	s_trap 2
.LBB6_1734:                             ;   in Loop: Header=BB6_1695 Depth=1
	s_or_b64 exec, exec, s[60:61]
	;;#ASMSTART
	s_wakeup
	;;#ASMEND
.LBB6_1735:                             ;   in Loop: Header=BB6_1695 Depth=1
	s_or_b64 exec, exec, s[58:59]
.LBB6_1736:                             ;   in Loop: Header=BB6_1695 Depth=1
	s_andn2_saveexec_b64 s[56:57], s[56:57]
	s_cbranch_execz .LBB6_1738
; %bb.1737:                             ;   in Loop: Header=BB6_1695 Depth=1
	s_waitcnt vmcnt(0) lgkmcnt(0)
	buffer_wbinvl1_vol
	s_barrier
.LBB6_1738:                             ;   in Loop: Header=BB6_1695 Depth=1
	s_or_b64 exec, exec, s[56:57]
.LBB6_1739:                             ;   in Loop: Header=BB6_1695 Depth=1
	s_or_b64 exec, exec, s[20:21]
	s_trap 2
	ds_read_b32 v15, v0
	v_and_b32_e32 v0, 0x4000, v30
	v_cmp_ne_u32_e32 vcc, 0, v0
	s_and_b64 s[56:57], s[42:43], vcc
	s_and_saveexec_b64 s[20:21], s[56:57]
	s_cbranch_execz .LBB6_1758
; %bb.1740:                             ;   in Loop: Header=BB6_1695 Depth=1
	s_and_saveexec_b64 s[56:57], s[26:27]
	s_xor_b64 s[56:57], exec, s[56:57]
	s_cbranch_execz .LBB6_1755
; %bb.1741:                             ;   in Loop: Header=BB6_1695 Depth=1
	s_and_saveexec_b64 s[58:59], s[12:13]
	s_cbranch_execz .LBB6_1754
; %bb.1742:                             ;   in Loop: Header=BB6_1695 Depth=1
	s_mov_b64 s[62:63], exec
	v_mbcnt_lo_u32_b32 v0, s62, 0
	v_mbcnt_hi_u32_b32 v0, s63, v0
	v_cmp_eq_u32_e32 vcc, 0, v0
	s_waitcnt vmcnt(0) lgkmcnt(0)
	buffer_wbinvl1_vol
	s_and_saveexec_b64 s[60:61], vcc
	s_cbranch_execz .LBB6_1744
; %bb.1743:                             ;   in Loop: Header=BB6_1695 Depth=1
	s_bcnt1_i32_b64 s62, s[62:63]
	v_mov_b32_e32 v16, s62
	ds_add_u64 v0, v[16:17]
	s_trap 2
.LBB6_1744:                             ;   in Loop: Header=BB6_1695 Depth=1
	s_or_b64 exec, exec, s[60:61]
	s_trap 2
	ds_read_b64 v[4:5], v0
	s_waitcnt lgkmcnt(0)
	v_add_co_u32_e32 v22, vcc, v22, v19
	v_addc_co_u32_e32 v23, vcc, 0, v23, vcc
	v_cmp_lt_u64_e32 vcc, v[4:5], v[22:23]
	s_and_saveexec_b64 s[60:61], vcc
	s_cbranch_execz .LBB6_1753
; %bb.1745:                             ;   in Loop: Header=BB6_1695 Depth=1
	s_mov_b32 s90, 0
	s_mov_b64 s[62:63], 0
                                        ; implicit-def: $sgpr72_sgpr73
                                        ; implicit-def: $sgpr74_sgpr75
	s_branch .LBB6_1747
.LBB6_1746:                             ;   in Loop: Header=BB6_1747 Depth=2
	s_or_b64 exec, exec, s[78:79]
	s_and_b64 s[76:77], exec, s[88:89]
	s_or_b64 s[62:63], s[76:77], s[62:63]
	s_andn2_b64 s[72:73], s[72:73], exec
	s_and_b64 s[76:77], s[74:75], exec
	s_or_b64 s[72:73], s[72:73], s[76:77]
	s_andn2_b64 exec, exec, s[62:63]
	s_cbranch_execz .LBB6_1751
.LBB6_1747:                             ;   Parent Loop BB6_1695 Depth=1
                                        ; =>  This Inner Loop Header: Depth=2
	s_add_i32 s90, s90, 1
	s_cmpk_lg_i32 s90, 0x2710
	s_cselect_b64 s[76:77], -1, 0
	s_and_b64 vcc, exec, s[76:77]
	s_cbranch_vccz .LBB6_1749
; %bb.1748:                             ;   in Loop: Header=BB6_1747 Depth=2
	s_mov_b64 s[88:89], -1
	s_or_b64 s[74:75], s[74:75], exec
	s_and_saveexec_b64 s[78:79], s[76:77]
	s_cbranch_execz .LBB6_1746
	s_branch .LBB6_1750
.LBB6_1749:                             ;   in Loop: Header=BB6_1747 Depth=2
	s_trap 2
	ds_read_b64 v[4:5], v0
	s_andn2_b64 s[76:77], s[76:77], exec
	s_mov_b32 s90, 0
	s_waitcnt lgkmcnt(0)
	flat_load_dword v0, v[4:5] glc
	s_waitcnt vmcnt(0) lgkmcnt(0)
	buffer_wbinvl1_vol
	v_cmp_eq_u32_e32 vcc, 0, v0
	s_and_b64 s[78:79], vcc, exec
	s_or_b64 s[76:77], s[76:77], s[78:79]
	s_mov_b64 s[88:89], -1
	s_or_b64 s[74:75], s[74:75], exec
	s_and_saveexec_b64 s[78:79], s[76:77]
	s_cbranch_execz .LBB6_1746
.LBB6_1750:                             ;   in Loop: Header=BB6_1747 Depth=2
	s_sleep 1
	s_trap 2
	ds_read_b64 v[4:5], v0
	s_waitcnt lgkmcnt(0)
	s_andn2_b64 s[74:75], s[74:75], exec
	v_cmp_ge_u64_e32 vcc, v[4:5], v[22:23]
	s_orn2_b64 s[88:89], vcc, exec
	s_branch .LBB6_1746
.LBB6_1751:                             ;   in Loop: Header=BB6_1695 Depth=1
	s_or_b64 exec, exec, s[62:63]
	s_and_saveexec_b64 s[62:63], s[72:73]
	s_xor_b64 s[62:63], exec, s[62:63]
	s_cbranch_execz .LBB6_1753
; %bb.1752:                             ;   in Loop: Header=BB6_1695 Depth=1
	ds_write_b32 v0, v35
	s_trap 2
.LBB6_1753:                             ;   in Loop: Header=BB6_1695 Depth=1
	s_or_b64 exec, exec, s[60:61]
	;;#ASMSTART
	s_wakeup
	;;#ASMEND
.LBB6_1754:                             ;   in Loop: Header=BB6_1695 Depth=1
	s_or_b64 exec, exec, s[58:59]
.LBB6_1755:                             ;   in Loop: Header=BB6_1695 Depth=1
	s_andn2_saveexec_b64 s[56:57], s[56:57]
	s_cbranch_execz .LBB6_1757
; %bb.1756:                             ;   in Loop: Header=BB6_1695 Depth=1
	s_waitcnt vmcnt(0) lgkmcnt(0)
	buffer_wbinvl1_vol
	s_barrier
.LBB6_1757:                             ;   in Loop: Header=BB6_1695 Depth=1
	s_or_b64 exec, exec, s[56:57]
.LBB6_1758:                             ;   in Loop: Header=BB6_1695 Depth=1
	s_or_b64 exec, exec, s[20:21]
	s_trap 2
	ds_read_b64 v[11:12], v0
	s_waitcnt lgkmcnt(0)
	v_cmp_eq_u64_e32 vcc, 0, v[11:12]
	s_cbranch_vccnz .LBB6_1766
; %bb.1759:                             ;   in Loop: Header=BB6_1695 Depth=1
	s_trap 2
	ds_read_b64 v[13:14], v0
	s_waitcnt lgkmcnt(0)
	v_cmp_eq_u64_e32 vcc, 0, v[13:14]
	s_cbranch_vccnz .LBB6_1766
; %bb.1760:                             ;   in Loop: Header=BB6_1695 Depth=1
	s_mov_b64 s[20:21], -1
	s_and_saveexec_b64 s[56:57], s[14:15]
	s_cbranch_execz .LBB6_1762
; %bb.1761:                             ;   in Loop: Header=BB6_1695 Depth=1
	ds_read_b32 v0, v0 offset:720
	s_waitcnt lgkmcnt(0)
	v_and_b32_e32 v0, 15, v0
	v_cmp_eq_u32_e32 vcc, 0, v0
	s_orn2_b64 s[20:21], vcc, exec
.LBB6_1762:                             ;   in Loop: Header=BB6_1695 Depth=1
	s_or_b64 exec, exec, s[56:57]
	s_and_saveexec_b64 s[56:57], s[16:17]
	s_cbranch_execz .LBB6_1764
; %bb.1763:                             ;   in Loop: Header=BB6_1695 Depth=1
	ds_read_b32 v0, v0 offset:784
	s_waitcnt lgkmcnt(0)
	v_and_b32_e32 v0, 15, v0
	v_cmp_eq_u32_e32 vcc, 0, v0
	s_and_b64 s[58:59], s[20:21], vcc
	s_andn2_b64 s[20:21], s[20:21], exec
	s_and_b64 s[58:59], s[58:59], exec
	s_or_b64 s[20:21], s[20:21], s[58:59]
.LBB6_1764:                             ;   in Loop: Header=BB6_1695 Depth=1
	s_or_b64 exec, exec, s[56:57]
	v_cmp_eq_u32_e32 vcc, 0, v15
	s_xor_b64 s[20:21], s[20:21], -1
	v_mov_b32_e32 v24, v40
	v_cndmask_b32_e32 v0, 0, v28, vcc
	v_cndmask_b32_e64 v4, 0, 1, s[20:21]
	v_mov_b32_e32 v25, v41
	v_lshlrev_b32_e32 v29, 1, v0
	s_mov_b64 s[58:59], -1
	v_cmp_ne_u32_e32 vcc, 0, v4
	v_mov_b32_e32 v40, 0
	s_cbranch_vccz .LBB6_1767
; %bb.1765:                             ;   in Loop: Header=BB6_1695 Depth=1
	v_mov_b32_e32 v57, v17
	v_mov_b32_e32 v32, v43
	s_and_saveexec_b64 s[20:21], s[58:59]
	s_cbranch_execnz .LBB6_1778
	s_branch .LBB6_1786
.LBB6_1766:                             ;   in Loop: Header=BB6_1695 Depth=1
	s_mov_b64 s[20:21], 0
	s_and_saveexec_b64 s[56:57], s[10:11]
	s_cbranch_execnz .LBB6_1787
	s_branch .LBB6_1805
.LBB6_1767:                             ;   in Loop: Header=BB6_1695 Depth=1
	buffer_load_dword v4, off, s[0:3], s33 offset:60 ; 4-byte Folded Reload
	v_lshrrev_b32_e32 v60, 12, v0
	s_waitcnt vmcnt(0)
	v_sub_u32_e32 v33, v60, v4
	v_cmp_lt_i32_e32 vcc, 0, v33
	s_and_saveexec_b64 s[56:57], vcc
	s_cbranch_execz .LBB6_1771
; %bb.1768:                             ;   in Loop: Header=BB6_1695 Depth=1
	buffer_store_dword v16, off, s[0:3], s33 offset:168 ; 4-byte Folded Spill
	s_nop 0
	buffer_store_dword v17, off, s[0:3], s33 offset:172 ; 4-byte Folded Spill
	buffer_store_dword v22, off, s[0:3], s33 offset:88 ; 4-byte Folded Spill
	s_nop 0
	buffer_store_dword v23, off, s[0:3], s33 offset:92 ; 4-byte Folded Spill
	;; [unrolled: 3-line block ×3, first 2 shown]
	buffer_store_dword v52, off, s[0:3], s33 offset:104 ; 4-byte Folded Spill
	buffer_store_dword v53, off, s[0:3], s33 offset:108 ; 4-byte Folded Spill
	;; [unrolled: 1-line block ×3, first 2 shown]
	v_mov_b32_e32 v16, v14
	v_mov_b32_e32 v32, v18
	;; [unrolled: 1-line block ×5, first 2 shown]
	s_mov_b64 s[58:59], 0
	v_mov_b32_e32 v15, v13
	v_mov_b32_e32 v17, v11
.LBB6_1769:                             ;   Parent Loop BB6_1695 Depth=1
                                        ; =>  This Inner Loop Header: Depth=2
	v_add_co_u32_e32 v4, vcc, v26, v17
	v_addc_co_u32_e32 v5, vcc, 0, v18, vcc
	v_add_co_u32_e32 v8, vcc, s95, v4
	v_addc_co_u32_e32 v9, vcc, 0, v5, vcc
	global_load_dwordx4 v[34:37], v[4:5], off glc slc
	global_load_dwordx4 v[48:51], v[4:5], off offset:1024 glc slc
	global_load_dwordx4 v[52:55], v[4:5], off offset:2048 glc slc
	global_load_dwordx4 v[42:45], v[4:5], off offset:3072 glc slc
	global_load_dwordx4 v[56:59], v[8:9], off glc slc
	global_load_dwordx4 v[20:23], v[8:9], off offset:1024 glc slc
	s_nop 0
	global_load_dwordx4 v[4:7], v[8:9], off offset:2048 glc slc
	global_load_dwordx4 v[38:41], v[8:9], off offset:3072 glc slc
	v_add_co_u32_e32 v8, vcc, v26, v15
	v_addc_co_u32_e32 v9, vcc, 0, v16, vcc
	v_add_co_u32_e32 v17, vcc, v17, v32
	v_addc_co_u32_e32 v18, vcc, 0, v18, vcc
	v_sub_u32_e32 v33, v33, v19
	v_add_co_u32_e32 v15, vcc, v15, v32
	v_addc_co_u32_e32 v16, vcc, 0, v16, vcc
	v_cmp_gt_i32_e64 s[20:21], 1, v33
	v_add_co_u32_e32 v61, vcc, s95, v8
	s_or_b64 s[58:59], s[20:21], s[58:59]
	v_addc_co_u32_e32 v62, vcc, 0, v9, vcc
	s_waitcnt vmcnt(7)
	global_store_dwordx4 v[8:9], v[34:37], off glc slc
	s_waitcnt vmcnt(7)
	global_store_dwordx4 v[8:9], v[48:51], off offset:1024 glc slc
	s_waitcnt vmcnt(7)
	global_store_dwordx4 v[8:9], v[52:55], off offset:2048 glc slc
	;; [unrolled: 2-line block ×3, first 2 shown]
	s_waitcnt vmcnt(7)
	global_store_dwordx4 v[61:62], v[56:59], off glc slc
	s_waitcnt vmcnt(7)
	global_store_dwordx4 v[61:62], v[20:23], off offset:1024 glc slc
	s_waitcnt vmcnt(7)
	global_store_dwordx4 v[61:62], v[4:7], off offset:2048 glc slc
	s_waitcnt vmcnt(7)
	global_store_dwordx4 v[61:62], v[38:41], off offset:3072 glc slc
	s_andn2_b64 exec, exec, s[58:59]
	s_cbranch_execnz .LBB6_1769
; %bb.1770:                             ;   in Loop: Header=BB6_1695 Depth=1
	s_or_b64 exec, exec, s[58:59]
	v_mov_b32_e32 v62, v31
	v_mov_b32_e32 v31, v30
	buffer_load_dword v56, off, s[0:3], s33 offset:144 ; 4-byte Folded Reload
	buffer_load_dword v43, off, s[0:3], s33 offset:140 ; 4-byte Folded Reload
	;; [unrolled: 1-line block ×22, first 2 shown]
	v_mov_b32_e32 v18, v32
	v_mov_b32_e32 v35, 1
.LBB6_1771:                             ;   in Loop: Header=BB6_1695 Depth=1
	s_or_b64 exec, exec, s[56:57]
	v_lshlrev_b32_e32 v15, 13, v60
	s_waitcnt vmcnt(0)
	v_mov_b32_e32 v57, v17
	v_cmp_ne_u32_e32 vcc, v29, v15
	s_mov_b64 s[58:59], 0
	v_mov_b32_e32 v40, 0
                                        ; implicit-def: $vgpr32
	s_and_saveexec_b64 s[56:57], vcc
	s_cbranch_execz .LBB6_1777
; %bb.1772:                             ;   in Loop: Header=BB6_1695 Depth=1
	buffer_load_dword v6, off, s[0:3], s33 offset:176 ; 4-byte Folded Reload
	v_lshlrev_b32_e32 v5, 6, v33
	v_sub_u32_e32 v4, v29, v15
	s_waitcnt vmcnt(0)
	v_sub_u32_e32 v5, v6, v5
	v_ashrrev_i32_e32 v6, 31, v5
	v_lshrrev_b32_e32 v6, 26, v6
	v_add_u32_e32 v6, v5, v6
	v_ashrrev_i32_e32 v7, 6, v6
	v_and_b32_e32 v6, 0xffffffc0, v6
	v_sub_u32_e32 v16, v5, v6
	v_lshlrev_b32_e32 v5, 4, v16
	v_lshl_add_u32 v33, v7, 10, v5
	v_ashrrev_i32_e32 v5, 31, v4
	v_lshrrev_b32_e32 v5, 22, v5
	v_add_u32_e32 v5, v4, v5
	v_and_b32_e32 v17, 0xfffffc00, v5
	v_sub_u32_e32 v18, v4, v17
	v_ashrrev_i32_e32 v6, 10, v5
	v_cmp_lt_i32_e32 vcc, 15, v18
	v_sub_u32_e32 v35, v4, v33
	v_addc_co_u32_e64 v4, s[20:21], 0, v6, vcc
	v_sub_u32_e32 v32, v4, v7
	v_cmp_lt_i32_e64 s[20:21], 15, v35
	s_and_saveexec_b64 s[58:59], s[20:21]
	s_cbranch_execz .LBB6_1776
; %bb.1773:                             ;   in Loop: Header=BB6_1695 Depth=1
	v_add_u32_e32 v33, v33, v15
	v_ashrrev_i32_e32 v34, 31, v33
	s_mov_b64 s[60:61], 0
	v_lshlrev_b32_e32 v38, 10, v19
.LBB6_1774:                             ;   Parent Loop BB6_1695 Depth=1
                                        ; =>  This Inner Loop Header: Depth=2
	v_add_co_u32_e64 v4, s[20:21], v11, v33
	v_addc_co_u32_e64 v5, s[20:21], v12, v34, s[20:21]
	global_load_dwordx4 v[4:7], v[4:5], off glc slc
	v_add_co_u32_e64 v8, s[20:21], v13, v33
	v_addc_co_u32_e64 v9, s[20:21], v14, v34, s[20:21]
	v_add_co_u32_e64 v33, s[20:21], v33, v38
	v_sub_u32_e32 v35, v35, v38
	v_addc_co_u32_e64 v34, s[20:21], 0, v34, s[20:21]
	v_cmp_gt_i32_e64 s[20:21], 16, v35
	v_sub_u32_e32 v32, v32, v19
	s_or_b64 s[60:61], s[20:21], s[60:61]
	s_waitcnt vmcnt(0)
	global_store_dwordx4 v[8:9], v[4:7], off glc slc
	s_andn2_b64 exec, exec, s[60:61]
	s_cbranch_execnz .LBB6_1774
; %bb.1775:                             ;   in Loop: Header=BB6_1695 Depth=1
	s_or_b64 exec, exec, s[60:61]
.LBB6_1776:                             ;   in Loop: Header=BB6_1695 Depth=1
	s_or_b64 exec, exec, s[58:59]
	v_and_b32_e32 v4, 14, v29
	v_sub_u32_e32 v5, v18, v4
	v_cndmask_b32_e32 v5, 0, v5, vcc
	v_cndmask_b32_e32 v29, v18, v4, vcc
	v_cmp_lt_i32_e32 vcc, 0, v32
	v_cndmask_b32_e32 v4, 0, v19, vcc
	v_sub_u32_e32 v4, v4, v32
	v_cmp_ne_u32_e32 vcc, 0, v29
	v_add3_u32 v40, v17, v15, v5
	v_lshl_add_u32 v32, v4, 6, v16
	s_and_b64 s[58:59], vcc, exec
	v_lshlrev_b32_e32 v18, 13, v19
	v_mov_b32_e32 v35, 1
.LBB6_1777:                             ;   in Loop: Header=BB6_1695 Depth=1
	s_or_b64 exec, exec, s[56:57]
	s_and_saveexec_b64 s[20:21], s[58:59]
	s_cbranch_execz .LBB6_1786
.LBB6_1778:                             ;   in Loop: Header=BB6_1695 Depth=1
	v_ashrrev_i32_e32 v4, 31, v32
	v_lshrrev_b32_e32 v4, 26, v4
	v_add_u32_e32 v15, v32, v4
	v_ashrrev_i32_e32 v4, 31, v29
	v_lshrrev_b32_e32 v4, 21, v4
	v_add_u32_e32 v4, v29, v4
	v_ashrrev_i32_e32 v33, 6, v15
	v_ashrrev_i32_e32 v35, 11, v4
	v_sub_u32_e32 v34, v35, v33
	v_cmp_lt_i32_e32 vcc, 0, v34
	s_and_saveexec_b64 s[56:57], vcc
	s_cbranch_execz .LBB6_1782
; %bb.1779:                             ;   in Loop: Header=BB6_1695 Depth=1
	v_and_b32_e32 v4, 0x7fffffc0, v15
	v_sub_u32_e32 v4, v32, v4
	v_lshlrev_b32_e32 v4, 1, v4
	v_lshlrev_b32_e32 v5, 11, v33
	v_mov_b32_e32 v45, v23
	v_mov_b32_e32 v61, v53
	v_add3_u32 v36, v4, v40, v5
	v_mov_b32_e32 v16, v14
	v_mov_b32_e32 v18, v12
	;; [unrolled: 1-line block ×6, first 2 shown]
	v_ashrrev_i32_e32 v37, 31, v36
	s_mov_b64 s[58:59], 0
	v_mov_b32_e32 v15, v13
	v_mov_b32_e32 v17, v11
.LBB6_1780:                             ;   Parent Loop BB6_1695 Depth=1
                                        ; =>  This Inner Loop Header: Depth=2
	v_add_co_u32_e32 v4, vcc, v36, v17
	v_addc_co_u32_e32 v5, vcc, v37, v18, vcc
	flat_load_ushort v6, v[4:5] glc slc
	flat_load_ushort v7, v[4:5] offset:128 glc slc
	flat_load_ushort v8, v[4:5] offset:256 glc slc
	flat_load_ushort v9, v[4:5] offset:384 glc slc
	flat_load_ushort v20, v[4:5] offset:512 glc slc
	flat_load_ushort v21, v[4:5] offset:640 glc slc
	flat_load_ushort v22, v[4:5] offset:768 glc slc
	flat_load_ushort v23, v[4:5] offset:896 glc slc
	flat_load_ushort v38, v[4:5] offset:1024 glc slc
	flat_load_ushort v39, v[4:5] offset:1152 glc slc
	flat_load_ushort v48, v[4:5] offset:1280 glc slc
	flat_load_ushort v49, v[4:5] offset:1408 glc slc
	flat_load_ushort v50, v[4:5] offset:1536 glc slc
	flat_load_ushort v51, v[4:5] offset:1664 glc slc
	flat_load_ushort v52, v[4:5] offset:1792 glc slc
	flat_load_ushort v53, v[4:5] offset:1920 glc slc
	v_add_co_u32_e32 v4, vcc, v36, v15
	v_addc_co_u32_e32 v5, vcc, v37, v16, vcc
	v_add_co_u32_e32 v17, vcc, v17, v27
	v_addc_co_u32_e32 v18, vcc, 0, v18, vcc
	v_add_co_u32_e32 v15, vcc, v15, v27
	v_sub_u32_e32 v34, v34, v19
	v_addc_co_u32_e32 v16, vcc, 0, v16, vcc
	v_cmp_gt_i32_e32 vcc, 1, v34
	s_or_b64 s[58:59], vcc, s[58:59]
	s_waitcnt vmcnt(0) lgkmcnt(0)
	flat_store_short v[4:5], v6 glc slc
	flat_store_short v[4:5], v7 offset:128 glc slc
	flat_store_short v[4:5], v8 offset:256 glc slc
	;; [unrolled: 1-line block ×15, first 2 shown]
	s_andn2_b64 exec, exec, s[58:59]
	s_cbranch_execnz .LBB6_1780
; %bb.1781:                             ;   in Loop: Header=BB6_1695 Depth=1
	s_or_b64 exec, exec, s[58:59]
	buffer_load_dword v36, off, s[0:3], s33 offset:112 ; 4-byte Folded Reload
	buffer_load_dword v37, off, s[0:3], s33 offset:116 ; 4-byte Folded Reload
	buffer_load_dword v38, off, s[0:3], s33 offset:120 ; 4-byte Folded Reload
	buffer_load_dword v39, off, s[0:3], s33 offset:124 ; 4-byte Folded Reload
	buffer_load_dword v48, off, s[0:3], s33 offset:128 ; 4-byte Folded Reload
	buffer_load_dword v49, off, s[0:3], s33 offset:132 ; 4-byte Folded Reload
	buffer_load_dword v20, off, s[0:3], s33 offset:72 ; 4-byte Folded Reload
	buffer_load_dword v21, off, s[0:3], s33 offset:76 ; 4-byte Folded Reload
	v_mov_b32_e32 v50, v58
	v_mov_b32_e32 v22, v44
	;; [unrolled: 1-line block ×6, first 2 shown]
	v_lshlrev_b32_e32 v18, 13, v19
.LBB6_1782:                             ;   in Loop: Header=BB6_1695 Depth=1
	s_or_b64 exec, exec, s[56:57]
	v_lshlrev_b32_e32 v15, 11, v35
	v_cmp_ne_u32_e32 vcc, v29, v15
	s_and_b64 s[56:57], exec, vcc
	v_mov_b32_e32 v35, 1
	s_mov_b64 exec, s[56:57]
	s_cbranch_execz .LBB6_1786
; %bb.1783:                             ;   in Loop: Header=BB6_1695 Depth=1
	v_lshlrev_b32_e32 v4, 6, v33
	v_sub_u32_e32 v4, v32, v4
	v_lshlrev_b32_e32 v5, 6, v34
	v_sub_u32_e32 v4, v4, v5
	v_ashrrev_i32_e32 v5, 31, v4
	v_lshrrev_b32_e32 v5, 26, v5
	v_add_u32_e32 v5, v4, v5
	v_and_b32_e32 v6, 0x7fffffc0, v5
	v_sub_u32_e32 v4, v4, v6
	v_lshlrev_b32_e32 v5, 1, v5
	v_and_b32_e32 v5, 0xffffff80, v5
	v_lshlrev_b32_e32 v4, 1, v4
	v_add3_u32 v16, v5, v4, v15
	v_sub_u32_e32 v15, v29, v16
	v_cmp_lt_i32_e32 vcc, 1, v15
	s_and_b64 exec, exec, vcc
	s_cbranch_execz .LBB6_1786
; %bb.1784:                             ;   in Loop: Header=BB6_1695 Depth=1
	v_add_u32_e32 v16, v16, v40
	v_ashrrev_i32_e32 v17, 31, v16
	s_mov_b64 s[56:57], 0
.LBB6_1785:                             ;   Parent Loop BB6_1695 Depth=1
                                        ; =>  This Inner Loop Header: Depth=2
	v_add_co_u32_e32 v4, vcc, v11, v16
	v_addc_co_u32_e32 v5, vcc, v12, v17, vcc
	flat_load_ushort v6, v[4:5] glc slc
	v_add_co_u32_e32 v4, vcc, v13, v16
	v_addc_co_u32_e32 v5, vcc, v14, v17, vcc
	v_add_co_u32_e32 v16, vcc, v16, v1
	v_sub_u32_e32 v15, v15, v1
	v_addc_co_u32_e32 v17, vcc, 0, v17, vcc
	v_cmp_gt_i32_e32 vcc, 2, v15
	s_or_b64 s[56:57], vcc, s[56:57]
	s_waitcnt vmcnt(0) lgkmcnt(0)
	flat_store_short v[4:5], v6 glc slc
	s_andn2_b64 exec, exec, s[56:57]
	s_cbranch_execnz .LBB6_1785
.LBB6_1786:                             ;   in Loop: Header=BB6_1695 Depth=1
	s_or_b64 exec, exec, s[20:21]
	buffer_load_dword v33, off, s[0:3], s33 offset:80 ; 4-byte Folded Reload
	buffer_load_dword v34, off, s[0:3], s33 offset:84 ; 4-byte Folded Reload
	v_mov_b32_e32 v41, v25
	v_cmp_ne_u32_e64 s[20:21], 0, v0
	v_mov_b32_e32 v40, v24
	v_mov_b32_e32 v17, v57
	s_and_saveexec_b64 s[56:57], s[10:11]
	s_cbranch_execz .LBB6_1805
.LBB6_1787:                             ;   in Loop: Header=BB6_1695 Depth=1
	s_and_saveexec_b64 s[58:59], s[26:27]
	s_xor_b64 s[58:59], exec, s[58:59]
	s_cbranch_execz .LBB6_1802
; %bb.1788:                             ;   in Loop: Header=BB6_1695 Depth=1
	s_and_saveexec_b64 s[60:61], s[12:13]
	s_cbranch_execz .LBB6_1801
; %bb.1789:                             ;   in Loop: Header=BB6_1695 Depth=1
	s_mov_b64 s[72:73], exec
	v_mbcnt_lo_u32_b32 v0, s72, 0
	v_mbcnt_hi_u32_b32 v0, s73, v0
	v_cmp_eq_u32_e32 vcc, 0, v0
	s_waitcnt vmcnt(0) lgkmcnt(0)
	buffer_wbinvl1_vol
	s_and_saveexec_b64 s[62:63], vcc
	s_cbranch_execz .LBB6_1791
; %bb.1790:                             ;   in Loop: Header=BB6_1695 Depth=1
	s_bcnt1_i32_b64 s72, s[72:73]
	v_mov_b32_e32 v16, s72
	ds_add_u64 v0, v[16:17]
	s_trap 2
.LBB6_1791:                             ;   in Loop: Header=BB6_1695 Depth=1
	s_or_b64 exec, exec, s[62:63]
	s_trap 2
	ds_read_b64 v[4:5], v0
	s_waitcnt lgkmcnt(0)
	v_add_co_u32_e32 v22, vcc, v22, v19
	v_addc_co_u32_e32 v23, vcc, 0, v23, vcc
	v_cmp_lt_u64_e32 vcc, v[4:5], v[22:23]
	s_and_saveexec_b64 s[62:63], vcc
	s_cbranch_execz .LBB6_1800
; %bb.1792:                             ;   in Loop: Header=BB6_1695 Depth=1
	s_mov_b32 s92, 0
	s_mov_b64 s[72:73], 0
                                        ; implicit-def: $sgpr74_sgpr75
                                        ; implicit-def: $sgpr76_sgpr77
	s_branch .LBB6_1794
.LBB6_1793:                             ;   in Loop: Header=BB6_1794 Depth=2
	s_or_b64 exec, exec, s[88:89]
	s_and_b64 s[78:79], exec, s[90:91]
	s_or_b64 s[72:73], s[78:79], s[72:73]
	s_andn2_b64 s[74:75], s[74:75], exec
	s_and_b64 s[78:79], s[76:77], exec
	s_or_b64 s[74:75], s[74:75], s[78:79]
	s_andn2_b64 exec, exec, s[72:73]
	s_cbranch_execz .LBB6_1798
.LBB6_1794:                             ;   Parent Loop BB6_1695 Depth=1
                                        ; =>  This Inner Loop Header: Depth=2
	s_add_i32 s92, s92, 1
	s_cmpk_lg_i32 s92, 0x2710
	s_cselect_b64 s[78:79], -1, 0
	s_and_b64 vcc, exec, s[78:79]
	s_cbranch_vccz .LBB6_1796
; %bb.1795:                             ;   in Loop: Header=BB6_1794 Depth=2
	s_mov_b64 s[90:91], -1
	s_or_b64 s[76:77], s[76:77], exec
	s_and_saveexec_b64 s[88:89], s[78:79]
	s_cbranch_execz .LBB6_1793
	s_branch .LBB6_1797
.LBB6_1796:                             ;   in Loop: Header=BB6_1794 Depth=2
	s_trap 2
	ds_read_b64 v[4:5], v0
	s_andn2_b64 s[78:79], s[78:79], exec
	s_mov_b32 s92, 0
	s_waitcnt lgkmcnt(0)
	flat_load_dword v0, v[4:5] glc
	s_waitcnt vmcnt(0) lgkmcnt(0)
	buffer_wbinvl1_vol
	v_cmp_eq_u32_e32 vcc, 0, v0
	s_and_b64 s[88:89], vcc, exec
	s_or_b64 s[78:79], s[78:79], s[88:89]
	s_mov_b64 s[90:91], -1
	s_or_b64 s[76:77], s[76:77], exec
	s_and_saveexec_b64 s[88:89], s[78:79]
	s_cbranch_execz .LBB6_1793
.LBB6_1797:                             ;   in Loop: Header=BB6_1794 Depth=2
	s_sleep 1
	s_trap 2
	ds_read_b64 v[4:5], v0
	s_waitcnt lgkmcnt(0)
	s_andn2_b64 s[76:77], s[76:77], exec
	v_cmp_ge_u64_e32 vcc, v[4:5], v[22:23]
	s_orn2_b64 s[90:91], vcc, exec
	s_branch .LBB6_1793
.LBB6_1798:                             ;   in Loop: Header=BB6_1695 Depth=1
	s_or_b64 exec, exec, s[72:73]
	s_and_saveexec_b64 s[72:73], s[74:75]
	s_xor_b64 s[72:73], exec, s[72:73]
	s_cbranch_execz .LBB6_1800
; %bb.1799:                             ;   in Loop: Header=BB6_1695 Depth=1
	ds_write_b32 v0, v35
	s_trap 2
.LBB6_1800:                             ;   in Loop: Header=BB6_1695 Depth=1
	s_or_b64 exec, exec, s[62:63]
	;;#ASMSTART
	s_wakeup
	;;#ASMEND
.LBB6_1801:                             ;   in Loop: Header=BB6_1695 Depth=1
	s_or_b64 exec, exec, s[60:61]
.LBB6_1802:                             ;   in Loop: Header=BB6_1695 Depth=1
	s_andn2_saveexec_b64 s[58:59], s[58:59]
	s_cbranch_execz .LBB6_1804
; %bb.1803:                             ;   in Loop: Header=BB6_1695 Depth=1
	s_waitcnt vmcnt(0) lgkmcnt(0)
	buffer_wbinvl1_vol
	s_barrier
.LBB6_1804:                             ;   in Loop: Header=BB6_1695 Depth=1
	s_or_b64 exec, exec, s[58:59]
.LBB6_1805:                             ;   in Loop: Header=BB6_1695 Depth=1
	s_or_b64 exec, exec, s[56:57]
	v_and_b32_e32 v0, 16, v30
	v_cmp_ne_u32_e32 vcc, 0, v0
	s_and_b64 s[56:57], vcc, s[20:21]
	s_and_saveexec_b64 s[20:21], s[56:57]
	s_cbranch_execz .LBB6_1807
; %bb.1806:                             ;   in Loop: Header=BB6_1695 Depth=1
	s_waitcnt vmcnt(0) lgkmcnt(0)
	buffer_wbinvl1_vol
.LBB6_1807:                             ;   in Loop: Header=BB6_1695 Depth=1
	s_or_b64 exec, exec, s[20:21]
	v_cmp_ne_u32_e32 vcc, 0, v0
	s_and_saveexec_b64 s[20:21], vcc
	s_cbranch_execz .LBB6_1811
; %bb.1808:                             ;   in Loop: Header=BB6_1695 Depth=1
	s_and_saveexec_b64 s[56:57], s[18:19]
	s_cbranch_execz .LBB6_1810
; %bb.1809:                             ;   in Loop: Header=BB6_1695 Depth=1
	buffer_load_dword v4, off, s[0:3], s33 offset:64 ; 4-byte Folded Reload
	buffer_load_dword v5, off, s[0:3], s33 offset:68 ; 4-byte Folded Reload
	s_waitcnt vmcnt(0)
	flat_store_dword v[4:5], v35
.LBB6_1810:                             ;   in Loop: Header=BB6_1695 Depth=1
	s_or_b64 exec, exec, s[56:57]
	v_add_co_u32_e32 v52, vcc, 1, v52
	v_addc_co_u32_e32 v53, vcc, 0, v53, vcc
	flat_store_dwordx2 v[40:41], v[52:53]
.LBB6_1811:                             ;   in Loop: Header=BB6_1695 Depth=1
	s_or_b64 exec, exec, s[20:21]
	v_mov_b32_e32 v0, v28
.LBB6_1812:                             ;   in Loop: Header=BB6_1695 Depth=1
	s_or_b64 exec, exec, s[46:47]
	s_and_saveexec_b64 s[46:47], s[44:45]
	s_cbranch_execz .LBB6_1694
; %bb.1813:                             ;   in Loop: Header=BB6_1695 Depth=1
	v_sub_u32_e32 v0, v10, v0
	v_min_i32_e32 v10, v28, v0
	v_and_b32_e32 v0, 8, v30
	v_cmp_ne_u32_e32 vcc, 0, v0
	s_and_saveexec_b64 s[44:45], vcc
	s_cbranch_execz .LBB6_1835
; %bb.1814:                             ;   in Loop: Header=BB6_1695 Depth=1
	s_waitcnt vmcnt(0)
	v_add_co_u32_e32 v4, vcc, 8, v46
	v_addc_co_u32_e32 v5, vcc, 0, v47, vcc
	s_waitcnt lgkmcnt(0)
	v_add_co_u32_e32 v12, vcc, 1, v52
	v_addc_co_u32_e32 v13, vcc, 0, v53, vcc
	v_cmp_lt_u64_e32 vcc, v[4:5], v[12:13]
	s_and_saveexec_b64 s[56:57], vcc
	s_cbranch_execz .LBB6_1826
; %bb.1815:                             ;   in Loop: Header=BB6_1695 Depth=1
	v_and_b32_e32 v0, 64, v30
	s_mov_b32 s92, 0
	v_cmp_eq_u32_e32 vcc, 0, v0
	s_mov_b64 s[58:59], 0
                                        ; implicit-def: $sgpr60_sgpr61
                                        ; implicit-def: $sgpr62_sgpr63
                                        ; implicit-def: $sgpr72_sgpr73
	s_branch .LBB6_1819
.LBB6_1816:                             ;   in Loop: Header=BB6_1819 Depth=2
	s_waitcnt vmcnt(0) lgkmcnt(0)
	v_add_co_u32_e64 v4, s[20:21], 8, v46
	v_addc_co_u32_e64 v5, s[20:21], 0, v47, s[20:21]
	v_cmp_ge_u64_e64 s[20:21], v[4:5], v[12:13]
	s_or_b64 s[78:79], s[78:79], exec
	s_orn2_b64 s[76:77], s[20:21], exec
.LBB6_1817:                             ;   in Loop: Header=BB6_1819 Depth=2
	s_or_b64 exec, exec, s[90:91]
	s_andn2_b64 s[20:21], s[72:73], exec
	s_and_b64 s[72:73], s[78:79], exec
	s_or_b64 s[72:73], s[20:21], s[72:73]
	s_andn2_b64 s[20:21], s[62:63], exec
	s_and_b64 s[62:63], s[76:77], exec
	s_or_b64 s[62:63], s[20:21], s[62:63]
.LBB6_1818:                             ;   in Loop: Header=BB6_1819 Depth=2
	s_or_b64 exec, exec, s[74:75]
	s_and_b64 s[20:21], exec, s[62:63]
	s_or_b64 s[58:59], s[20:21], s[58:59]
	s_andn2_b64 s[20:21], s[60:61], exec
	s_and_b64 s[60:61], s[72:73], exec
	s_or_b64 s[60:61], s[20:21], s[60:61]
	s_andn2_b64 exec, exec, s[58:59]
	s_cbranch_execz .LBB6_1823
.LBB6_1819:                             ;   Parent Loop BB6_1695 Depth=1
                                        ; =>  This Inner Loop Header: Depth=2
	s_sleep 1
	s_waitcnt vmcnt(0) lgkmcnt(0)
	flat_load_dwordx2 v[46:47], v[40:41] glc
	s_or_b64 s[72:73], s[72:73], exec
	s_or_b64 s[62:63], s[62:63], exec
                                        ; implicit-def: $vgpr0
	s_and_saveexec_b64 s[74:75], vcc
	s_cbranch_execz .LBB6_1818
; %bb.1820:                             ;   in Loop: Header=BB6_1819 Depth=2
	s_cmpk_lt_i32 s92, 0x270f
	s_cselect_b64 s[88:89], -1, 0
	s_cmpk_gt_i32 s92, 0x270e
	s_mov_b64 s[76:77], -1
	s_cbranch_scc0 .LBB6_1822
; %bb.1821:                             ;   in Loop: Header=BB6_1819 Depth=2
	s_trap 2
	ds_read_b64 v[4:5], v0
	s_andn2_b64 s[88:89], s[88:89], exec
	s_mov_b32 s92, 0
	s_mov_b64 s[78:79], 0
	s_waitcnt vmcnt(0) lgkmcnt(0)
	flat_load_dword v0, v[4:5] glc
	s_waitcnt vmcnt(0) lgkmcnt(0)
	buffer_wbinvl1_vol
	v_cmp_eq_u32_e64 s[20:21], 0, v0
	s_and_b64 s[20:21], s[20:21], exec
	s_or_b64 s[88:89], s[88:89], s[20:21]
	s_and_saveexec_b64 s[90:91], s[88:89]
	s_cbranch_execz .LBB6_1817
	s_branch .LBB6_1816
.LBB6_1822:                             ;   in Loop: Header=BB6_1819 Depth=2
	s_add_i32 s92, s92, 1
	s_mov_b64 s[78:79], -1
                                        ; implicit-def: $vgpr0
	s_and_saveexec_b64 s[90:91], s[88:89]
	s_cbranch_execz .LBB6_1817
	s_branch .LBB6_1816
.LBB6_1823:                             ;   in Loop: Header=BB6_1695 Depth=1
	s_or_b64 exec, exec, s[58:59]
	s_xor_b64 s[20:21], s[60:61], -1
	s_and_saveexec_b64 s[58:59], s[20:21]
	s_xor_b64 s[20:21], exec, s[58:59]
	s_cbranch_execz .LBB6_1825
; %bb.1824:                             ;   in Loop: Header=BB6_1695 Depth=1
	v_or_b32_e32 v30, 64, v30
	s_waitcnt lgkmcnt(0)
	ds_write_b32 v0, v0
	s_trap 2
.LBB6_1825:                             ;   in Loop: Header=BB6_1695 Depth=1
	s_or_b64 exec, exec, s[20:21]
.LBB6_1826:                             ;   in Loop: Header=BB6_1695 Depth=1
	s_or_b64 exec, exec, s[56:57]
	v_and_b32_e32 v0, 0x100, v30
	v_cmp_ne_u32_e32 vcc, 0, v0
	v_and_b32_e32 v0, 7, v52
	s_mov_b64 s[20:21], -1
	;;#ASMSTART
	s_wakeup
	;;#ASMEND
                                        ; implicit-def: $vgpr8_vgpr9
	s_and_saveexec_b64 s[56:57], vcc
	s_cbranch_execz .LBB6_1830
; %bb.1827:                             ;   in Loop: Header=BB6_1695 Depth=1
	v_mad_u64_u32 v[14:15], s[20:21], v0, 24, v[50:51]
	v_ashrrev_i32_e32 v11, 31, v10
	v_lshlrev_b64 v[4:5], 1, v[10:11]
	flat_load_dword v6, v[14:15]
                                        ; implicit-def: $vgpr8_vgpr9
	s_waitcnt vmcnt(0) lgkmcnt(0)
	v_cmp_ne_u32_e32 vcc, 1, v6
	v_cmp_eq_u32_e64 s[20:21], 1, v6
	flat_store_dwordx2 v[14:15], v[4:5] offset:8
	s_and_saveexec_b64 s[58:59], s[20:21]
	s_cbranch_execz .LBB6_1829
; %bb.1828:                             ;   in Loop: Header=BB6_1695 Depth=1
	flat_load_dword v4, v[14:15] offset:4 glc
	s_waitcnt vmcnt(0) lgkmcnt(0)
	v_ashrrev_i32_e32 v5, 31, v4
	v_lshrrev_b64 v[8:9], 1, v[4:5]
.LBB6_1829:                             ;   in Loop: Header=BB6_1695 Depth=1
	s_or_b64 exec, exec, s[58:59]
	s_orn2_b64 s[20:21], vcc, exec
.LBB6_1830:                             ;   in Loop: Header=BB6_1695 Depth=1
	s_or_b64 exec, exec, s[56:57]
	s_and_saveexec_b64 s[56:57], s[20:21]
; %bb.1831:                             ;   in Loop: Header=BB6_1695 Depth=1
	v_mad_i64_i32 v[8:9], s[20:21], v0, v42, 0
; %bb.1832:                             ;   in Loop: Header=BB6_1695 Depth=1
	s_or_b64 exec, exec, s[56:57]
	v_lshlrev_b64 v[4:5], 1, v[8:9]
	v_add_co_u32_e32 v4, vcc, v20, v4
	v_addc_co_u32_e32 v5, vcc, v21, v5, vcc
	ds_write_b64 v0, v[4:5] offset:784
	v_and_b32_e32 v0, 0x2000, v30
	v_cmp_ne_u32_e32 vcc, 0, v0
	s_and_saveexec_b64 s[20:21], vcc
	s_cbranch_execz .LBB6_1834
; %bb.1833:                             ;   in Loop: Header=BB6_1695 Depth=1
	ds_read_b64 v[4:5], v0 offset:872
	s_waitcnt lgkmcnt(0)
	v_add_co_u32_e32 v4, vcc, 1, v4
	v_addc_co_u32_e32 v5, vcc, 0, v5, vcc
	ds_write_b64 v0, v[4:5] offset:872
.LBB6_1834:                             ;   in Loop: Header=BB6_1695 Depth=1
	s_or_b64 exec, exec, s[20:21]
	v_mov_b32_e32 v53, v13
	v_mov_b32_e32 v52, v12
.LBB6_1835:                             ;   in Loop: Header=BB6_1695 Depth=1
	s_or_b64 exec, exec, s[44:45]
	s_and_saveexec_b64 s[20:21], s[10:11]
	s_cbranch_execz .LBB6_1854
; %bb.1836:                             ;   in Loop: Header=BB6_1695 Depth=1
	s_and_saveexec_b64 s[44:45], s[26:27]
	s_xor_b64 s[44:45], exec, s[44:45]
	s_cbranch_execz .LBB6_1851
; %bb.1837:                             ;   in Loop: Header=BB6_1695 Depth=1
	s_and_saveexec_b64 s[56:57], s[12:13]
	s_cbranch_execz .LBB6_1850
; %bb.1838:                             ;   in Loop: Header=BB6_1695 Depth=1
	s_mov_b64 s[60:61], exec
	v_mbcnt_lo_u32_b32 v0, s60, 0
	v_mbcnt_hi_u32_b32 v0, s61, v0
	v_cmp_eq_u32_e32 vcc, 0, v0
	s_waitcnt vmcnt(0) lgkmcnt(0)
	buffer_wbinvl1_vol
	s_and_saveexec_b64 s[58:59], vcc
	s_cbranch_execz .LBB6_1840
; %bb.1839:                             ;   in Loop: Header=BB6_1695 Depth=1
	s_bcnt1_i32_b64 s60, s[60:61]
	v_mov_b32_e32 v16, s60
	ds_add_u64 v0, v[16:17]
	s_trap 2
.LBB6_1840:                             ;   in Loop: Header=BB6_1695 Depth=1
	s_or_b64 exec, exec, s[58:59]
	s_trap 2
	ds_read_b64 v[4:5], v0
	s_waitcnt lgkmcnt(0)
	v_add_co_u32_e32 v22, vcc, v22, v19
	v_addc_co_u32_e32 v23, vcc, 0, v23, vcc
	v_cmp_lt_u64_e32 vcc, v[4:5], v[22:23]
	s_and_saveexec_b64 s[58:59], vcc
	s_cbranch_execz .LBB6_1849
; %bb.1841:                             ;   in Loop: Header=BB6_1695 Depth=1
	s_mov_b32 s88, 0
	s_mov_b64 s[60:61], 0
                                        ; implicit-def: $sgpr62_sgpr63
                                        ; implicit-def: $sgpr72_sgpr73
	s_branch .LBB6_1843
.LBB6_1842:                             ;   in Loop: Header=BB6_1843 Depth=2
	s_or_b64 exec, exec, s[76:77]
	s_and_b64 s[74:75], exec, s[78:79]
	s_or_b64 s[60:61], s[74:75], s[60:61]
	s_andn2_b64 s[62:63], s[62:63], exec
	s_and_b64 s[74:75], s[72:73], exec
	s_or_b64 s[62:63], s[62:63], s[74:75]
	s_andn2_b64 exec, exec, s[60:61]
	s_cbranch_execz .LBB6_1847
.LBB6_1843:                             ;   Parent Loop BB6_1695 Depth=1
                                        ; =>  This Inner Loop Header: Depth=2
	s_add_i32 s88, s88, 1
	s_cmpk_lg_i32 s88, 0x2710
	s_cselect_b64 s[74:75], -1, 0
	s_and_b64 vcc, exec, s[74:75]
	s_cbranch_vccz .LBB6_1845
; %bb.1844:                             ;   in Loop: Header=BB6_1843 Depth=2
	s_mov_b64 s[78:79], -1
	s_or_b64 s[72:73], s[72:73], exec
	s_and_saveexec_b64 s[76:77], s[74:75]
	s_cbranch_execz .LBB6_1842
	s_branch .LBB6_1846
.LBB6_1845:                             ;   in Loop: Header=BB6_1843 Depth=2
	s_trap 2
	ds_read_b64 v[4:5], v0
	s_andn2_b64 s[74:75], s[74:75], exec
	s_mov_b32 s88, 0
	s_waitcnt lgkmcnt(0)
	flat_load_dword v0, v[4:5] glc
	s_waitcnt vmcnt(0) lgkmcnt(0)
	buffer_wbinvl1_vol
	v_cmp_eq_u32_e32 vcc, 0, v0
	s_and_b64 s[76:77], vcc, exec
	s_or_b64 s[74:75], s[74:75], s[76:77]
	s_mov_b64 s[78:79], -1
	s_or_b64 s[72:73], s[72:73], exec
	s_and_saveexec_b64 s[76:77], s[74:75]
	s_cbranch_execz .LBB6_1842
.LBB6_1846:                             ;   in Loop: Header=BB6_1843 Depth=2
	s_sleep 1
	s_trap 2
	ds_read_b64 v[4:5], v0
	s_waitcnt lgkmcnt(0)
	s_andn2_b64 s[72:73], s[72:73], exec
	v_cmp_ge_u64_e32 vcc, v[4:5], v[22:23]
	s_orn2_b64 s[78:79], vcc, exec
	s_branch .LBB6_1842
.LBB6_1847:                             ;   in Loop: Header=BB6_1695 Depth=1
	s_or_b64 exec, exec, s[60:61]
	s_and_saveexec_b64 s[60:61], s[62:63]
	s_xor_b64 s[60:61], exec, s[60:61]
	s_cbranch_execz .LBB6_1849
; %bb.1848:                             ;   in Loop: Header=BB6_1695 Depth=1
	ds_write_b32 v0, v35
	s_trap 2
.LBB6_1849:                             ;   in Loop: Header=BB6_1695 Depth=1
	s_or_b64 exec, exec, s[58:59]
	;;#ASMSTART
	s_wakeup
	;;#ASMEND
.LBB6_1850:                             ;   in Loop: Header=BB6_1695 Depth=1
	s_or_b64 exec, exec, s[56:57]
.LBB6_1851:                             ;   in Loop: Header=BB6_1695 Depth=1
	s_andn2_saveexec_b64 s[44:45], s[44:45]
	s_cbranch_execz .LBB6_1853
; %bb.1852:                             ;   in Loop: Header=BB6_1695 Depth=1
	s_waitcnt vmcnt(0) lgkmcnt(0)
	buffer_wbinvl1_vol
	s_barrier
.LBB6_1853:                             ;   in Loop: Header=BB6_1695 Depth=1
	s_or_b64 exec, exec, s[44:45]
.LBB6_1854:                             ;   in Loop: Header=BB6_1695 Depth=1
	s_or_b64 exec, exec, s[20:21]
	s_trap 2
	ds_read_b32 v4, v0
	v_cmp_lt_i32_e32 vcc, 0, v10
	v_and_b32_e32 v0, 16, v30
	s_waitcnt lgkmcnt(0)
	v_readfirstlane_b32 s20, v4
	s_cmp_eq_u32 s20, 0
	s_cselect_b64 s[20:21], -1, 0
	s_and_b64 s[20:21], vcc, s[20:21]
	v_cmp_ne_u32_e32 vcc, 0, v0
	s_and_b64 s[44:45], vcc, s[20:21]
	s_and_saveexec_b64 s[20:21], s[44:45]
	s_cbranch_execz .LBB6_1856
; %bb.1855:                             ;   in Loop: Header=BB6_1695 Depth=1
	s_waitcnt vmcnt(0)
	buffer_wbinvl1_vol
.LBB6_1856:                             ;   in Loop: Header=BB6_1695 Depth=1
	s_or_b64 exec, exec, s[20:21]
	v_cmp_ne_u32_e32 vcc, 0, v0
	s_and_saveexec_b64 s[20:21], vcc
	s_cbranch_execz .LBB6_1693
; %bb.1857:                             ;   in Loop: Header=BB6_1695 Depth=1
	s_and_saveexec_b64 s[44:45], s[18:19]
	s_cbranch_execz .LBB6_1692
; %bb.1858:                             ;   in Loop: Header=BB6_1695 Depth=1
	buffer_load_dword v4, off, s[0:3], s33 offset:64 ; 4-byte Folded Reload
	buffer_load_dword v5, off, s[0:3], s33 offset:68 ; 4-byte Folded Reload
	s_waitcnt vmcnt(0)
	flat_store_dword v[4:5], v35
	s_branch .LBB6_1692
.LBB6_1859:
	s_or_b64 exec, exec, s[40:41]
.LBB6_1860:
	s_or_b64 exec, exec, s[24:25]
.LBB6_1861:
	s_or_b64 exec, exec, s[22:23]
	v_and_b32_e32 v0, 0x800, v30
	v_cmp_eq_u32_e32 vcc, 0, v0
	s_and_saveexec_b64 s[6:7], vcc
	s_cbranch_execz .LBB6_1894
; %bb.1862:
	v_and_b32_e32 v0, 48, v30
	v_cmp_ne_u32_e32 vcc, 0, v0
	s_and_saveexec_b64 s[4:5], vcc
	s_cbranch_execz .LBB6_1864
; %bb.1863:
	s_waitcnt vmcnt(0) lgkmcnt(0)
	flat_store_dwordx2 v[54:55], v[52:53] offset:104
.LBB6_1864:
	s_or_b64 exec, exec, s[4:5]
	s_movk_i32 s4, 0x88
	v_and_b32_e32 v0, 0x88, v30
	v_cmp_eq_u32_e32 vcc, s4, v0
	s_and_saveexec_b64 s[10:11], vcc
	s_cbranch_execz .LBB6_1874
; %bb.1865:
	s_waitcnt vmcnt(0) lgkmcnt(0)
	v_add_u32_e32 v0, -1, v52
	v_and_b32_e32 v0, 7, v0
	v_mad_u64_u32 v[0:1], s[4:5], v0, 24, v[50:51]
	v_and_b32_e32 v4, 64, v30
	v_cmp_eq_u32_e64 s[4:5], 0, v4
	flat_load_dwordx2 v[2:3], v[0:1] offset:8 glc
	s_waitcnt vmcnt(0)
	s_mov_b32 s22, 0
	s_waitcnt lgkmcnt(0)
	v_cmp_ne_u64_e32 vcc, -1, v[2:3]
	s_and_b64 s[4:5], vcc, s[4:5]
	s_and_b64 exec, exec, s[4:5]
	s_cbranch_execz .LBB6_1874
; %bb.1866:
	s_mov_b64 s[4:5], 0
                                        ; implicit-def: $sgpr12_sgpr13
                                        ; implicit-def: $sgpr14_sgpr15
	s_branch .LBB6_1869
.LBB6_1867:                             ;   in Loop: Header=BB6_1869 Depth=1
	flat_load_dwordx2 v[3:4], v[0:1] offset:8 glc
	s_waitcnt vmcnt(0)
	s_andn2_b64 s[14:15], s[14:15], exec
	s_waitcnt lgkmcnt(0)
	v_cmp_eq_u64_e32 vcc, -1, v[3:4]
	s_orn2_b64 s[18:19], vcc, exec
.LBB6_1868:                             ;   in Loop: Header=BB6_1869 Depth=1
	s_or_b64 exec, exec, s[20:21]
	s_and_b64 s[16:17], exec, s[18:19]
	s_or_b64 s[4:5], s[16:17], s[4:5]
	s_andn2_b64 s[12:13], s[12:13], exec
	s_and_b64 s[16:17], s[14:15], exec
	s_or_b64 s[12:13], s[12:13], s[16:17]
	s_andn2_b64 exec, exec, s[4:5]
	s_cbranch_execz .LBB6_1872
.LBB6_1869:                             ; =>This Inner Loop Header: Depth=1
	s_cmpk_lt_i32 s22, 0x270f
	s_cselect_b64 s[16:17], -1, 0
	s_and_b64 vcc, exec, s[16:17]
	s_cbranch_vccnz .LBB6_1871
; %bb.1870:                             ;   in Loop: Header=BB6_1869 Depth=1
	s_trap 2
	ds_read_b64 v[2:3], v0
	s_andn2_b64 s[16:17], s[16:17], exec
	s_mov_b32 s22, 0
	s_waitcnt lgkmcnt(0)
	flat_load_dword v2, v[2:3] glc
	s_waitcnt vmcnt(0) lgkmcnt(0)
	buffer_wbinvl1_vol
	v_cmp_eq_u32_e32 vcc, 0, v2
	s_and_b64 s[18:19], vcc, exec
	s_or_b64 s[16:17], s[16:17], s[18:19]
	s_mov_b64 s[18:19], -1
	s_or_b64 s[14:15], s[14:15], exec
	s_and_saveexec_b64 s[20:21], s[16:17]
	s_cbranch_execz .LBB6_1868
	s_branch .LBB6_1867
.LBB6_1871:                             ;   in Loop: Header=BB6_1869 Depth=1
	s_add_i32 s22, s22, 1
                                        ; implicit-def: $vgpr2
	s_mov_b64 s[18:19], -1
	s_or_b64 s[14:15], s[14:15], exec
	s_and_saveexec_b64 s[20:21], s[16:17]
	s_cbranch_execz .LBB6_1868
	s_branch .LBB6_1867
.LBB6_1872:
	s_or_b64 exec, exec, s[4:5]
	s_and_saveexec_b64 s[4:5], s[12:13]
	s_xor_b64 s[4:5], exec, s[4:5]
	s_cbranch_execz .LBB6_1874
; %bb.1873:
	ds_write_b32 v0, v2
	s_trap 2
.LBB6_1874:
	s_or_b64 exec, exec, s[10:11]
	v_and_b32_e32 v0, 0x2000, v30
	v_cmp_ne_u32_e32 vcc, 0, v0
	s_and_saveexec_b64 s[4:5], vcc
	s_cbranch_execz .LBB6_1876
; %bb.1875:
	s_trap 2
	ds_read_b64 v[0:1], v0
	buffer_load_dword v2, off, s[0:3], s33 offset:188 ; 4-byte Folded Reload
	buffer_load_dword v3, off, s[0:3], s33 offset:192 ; 4-byte Folded Reload
	s_waitcnt vmcnt(0) lgkmcnt(0)
	flat_store_dwordx2 v[2:3], v[0:1] offset:16
.LBB6_1876:
	s_or_b64 exec, exec, s[4:5]
	s_waitcnt vmcnt(0)
	v_cmp_ne_u32_e32 vcc, 64, v62
	s_and_b64 exec, exec, vcc
	s_cbranch_execz .LBB6_1894
; %bb.1877:
	v_cmp_ne_u32_sdwa s[4:5], v62, v56 src0_sel:DWORD src1_sel:WORD_0
	s_and_saveexec_b64 s[10:11], s[4:5]
	s_xor_b64 s[4:5], exec, s[10:11]
	s_cbranch_execz .LBB6_1892
; %bb.1878:
	v_and_b32_e32 v0, 63, v31
	v_cmp_eq_u32_e32 vcc, 0, v0
	s_and_saveexec_b64 s[10:11], vcc
	s_cbranch_execz .LBB6_1891
; %bb.1879:
	s_mov_b64 s[14:15], exec
	v_mbcnt_lo_u32_b32 v0, s14, 0
	v_mbcnt_hi_u32_b32 v0, s15, v0
	v_cmp_eq_u32_e32 vcc, 0, v0
	s_waitcnt lgkmcnt(0)
	buffer_wbinvl1_vol
	s_and_saveexec_b64 s[12:13], vcc
	s_cbranch_execz .LBB6_1881
; %bb.1880:
	s_bcnt1_i32_b64 s14, s[14:15]
	v_mov_b32_e32 v0, s14
	v_mov_b32_e32 v1, 0
	ds_add_u64 v0, v[0:1]
	s_trap 2
.LBB6_1881:
	s_or_b64 exec, exec, s[12:13]
	v_lshrrev_b32_e32 v0, 6, v62
	s_trap 2
	ds_read_b64 v[2:3], v0
	s_waitcnt lgkmcnt(0)
	v_add_co_u32_e32 v0, vcc, v22, v0
	v_addc_co_u32_e32 v1, vcc, 0, v23, vcc
	v_cmp_lt_u64_e32 vcc, v[2:3], v[0:1]
	s_and_saveexec_b64 s[12:13], vcc
	s_cbranch_execz .LBB6_1890
; %bb.1882:
	s_mov_b32 s26, 0
	s_mov_b64 s[14:15], 0
                                        ; implicit-def: $sgpr16_sgpr17
                                        ; implicit-def: $sgpr18_sgpr19
	s_branch .LBB6_1884
.LBB6_1883:                             ;   in Loop: Header=BB6_1884 Depth=1
	s_or_b64 exec, exec, s[22:23]
	s_and_b64 s[20:21], exec, s[24:25]
	s_or_b64 s[14:15], s[20:21], s[14:15]
	s_andn2_b64 s[16:17], s[16:17], exec
	s_and_b64 s[20:21], s[18:19], exec
	s_or_b64 s[16:17], s[16:17], s[20:21]
	s_andn2_b64 exec, exec, s[14:15]
	s_cbranch_execz .LBB6_1888
.LBB6_1884:                             ; =>This Inner Loop Header: Depth=1
	s_add_i32 s26, s26, 1
	s_cmpk_lg_i32 s26, 0x2710
	s_cselect_b64 s[20:21], -1, 0
	s_and_b64 vcc, exec, s[20:21]
	s_cbranch_vccz .LBB6_1886
; %bb.1885:                             ;   in Loop: Header=BB6_1884 Depth=1
	s_mov_b64 s[24:25], -1
	s_or_b64 s[18:19], s[18:19], exec
	s_and_saveexec_b64 s[22:23], s[20:21]
	s_cbranch_execz .LBB6_1883
	s_branch .LBB6_1887
.LBB6_1886:                             ;   in Loop: Header=BB6_1884 Depth=1
	s_trap 2
	ds_read_b64 v[2:3], v0
	s_andn2_b64 s[20:21], s[20:21], exec
	s_mov_b32 s26, 0
	s_waitcnt lgkmcnt(0)
	flat_load_dword v2, v[2:3] glc
	s_waitcnt vmcnt(0) lgkmcnt(0)
	buffer_wbinvl1_vol
	v_cmp_eq_u32_e32 vcc, 0, v2
	s_and_b64 s[22:23], vcc, exec
	s_or_b64 s[20:21], s[20:21], s[22:23]
	s_mov_b64 s[24:25], -1
	s_or_b64 s[18:19], s[18:19], exec
	s_and_saveexec_b64 s[22:23], s[20:21]
	s_cbranch_execz .LBB6_1883
.LBB6_1887:                             ;   in Loop: Header=BB6_1884 Depth=1
	s_sleep 1
	s_trap 2
	ds_read_b64 v[2:3], v0
	s_waitcnt lgkmcnt(0)
	s_andn2_b64 s[18:19], s[18:19], exec
	v_cmp_ge_u64_e32 vcc, v[2:3], v[0:1]
	s_orn2_b64 s[24:25], vcc, exec
	s_branch .LBB6_1883
.LBB6_1888:
	s_or_b64 exec, exec, s[14:15]
	s_and_saveexec_b64 s[14:15], s[16:17]
	s_xor_b64 s[14:15], exec, s[14:15]
	s_cbranch_execz .LBB6_1890
; %bb.1889:
	v_mov_b32_e32 v0, 1
	ds_write_b32 v0, v0
	s_trap 2
.LBB6_1890:
	s_or_b64 exec, exec, s[12:13]
	;;#ASMSTART
	s_wakeup
	;;#ASMEND
.LBB6_1891:
	s_or_b64 exec, exec, s[10:11]
.LBB6_1892:
	s_andn2_saveexec_b64 s[4:5], s[4:5]
	s_cbranch_execz .LBB6_1894
; %bb.1893:
	s_waitcnt lgkmcnt(0)
	buffer_wbinvl1_vol
	s_barrier
.LBB6_1894:
	s_or_b64 exec, exec, s[6:7]
.LBB6_1895:
	s_andn2_saveexec_b64 s[26:27], s[28:29]
	s_cbranch_execz .LBB6_1897
; %bb.1896:
	s_getpc_b64 s[4:5]
	s_add_u32 s4, s4, __PRETTY_FUNCTION__._ZN10PrimitivesI6__half10FuncMinMaxIS0_E12FanSymmetricILi1EELi0E11ProtoSimpleILi1ELi1ELi0ELi4ELi0ELi0EELi0ELb0ELi0ELi0ELi0EEC2EiiPKiS9_PKvPvmhhhP15ncclDevWorkCollP14ncclDevWorkP2pii@rel32@lo+4
	s_addc_u32 s5, s5, __PRETTY_FUNCTION__._ZN10PrimitivesI6__half10FuncMinMaxIS0_E12FanSymmetricILi1EELi0E11ProtoSimpleILi1ELi1ELi0ELi4ELi0ELi0EELi0ELb0ELi0ELi0ELi0EEC2EiiPKiS9_PKvPvmhhhP15ncclDevWorkCollP14ncclDevWorkP2pii@rel32@hi+12
	s_getpc_b64 s[6:7]
	s_add_u32 s6, s6, __assert_fail@rel32@lo+4
	s_addc_u32 s7, s7, __assert_fail@rel32@hi+12
	v_mov_b32_e32 v0, s4
	v_mov_b32_e32 v1, s5
	s_swappc_b64 s[30:31], s[6:7]
	; divergent unreachable
.LBB6_1897:
	s_or_b64 exec, exec, s[26:27]
	buffer_load_dword v62, off, s[0:3], s33 ; 4-byte Folded Reload
	buffer_load_dword v61, off, s[0:3], s33 offset:4 ; 4-byte Folded Reload
	buffer_load_dword v60, off, s[0:3], s33 offset:8 ; 4-byte Folded Reload
	;; [unrolled: 1-line block ×14, first 2 shown]
	v_readlane_b32 s30, v63, 7
	v_readlane_b32 s31, v63, 8
	;; [unrolled: 1-line block ×9, first 2 shown]
	s_mov_b32 s32, s33
	v_readlane_b32 s4, v63, 9
	s_or_saveexec_b64 s[6:7], -1
	buffer_load_dword v63, off, s[0:3], s33 offset:236 ; 4-byte Folded Reload
	s_mov_b64 exec, s[6:7]
	s_mov_b32 s33, s4
	s_waitcnt vmcnt(0) lgkmcnt(0)
	s_setpc_b64 s[30:31]
.Lfunc_end6:
	.size	_ZN12_GLOBAL__N_17runRingI6__half10FuncMinMaxIS1_E11ProtoSimpleILi1ELi1ELi0ELi4ELi0ELi0EELi0ELi4ELi0EEEviiP15ncclDevWorkColl, .Lfunc_end6-_ZN12_GLOBAL__N_17runRingI6__half10FuncMinMaxIS1_E11ProtoSimpleILi1ELi1ELi0ELi4ELi0ELi0EELi0ELi4ELi0EEEviiP15ncclDevWorkColl
                                        ; -- End function
	.set .L_ZN12_GLOBAL__N_17runRingI6__half10FuncMinMaxIS1_E11ProtoSimpleILi1ELi1ELi0ELi4ELi0ELi0EELi0ELi4ELi0EEEviiP15ncclDevWorkColl.num_vgpr, max(64, .L__assert_fail.num_vgpr)
	.set .L_ZN12_GLOBAL__N_17runRingI6__half10FuncMinMaxIS1_E11ProtoSimpleILi1ELi1ELi0ELi4ELi0ELi0EELi0ELi4ELi0EEEviiP15ncclDevWorkColl.num_agpr, max(0, .L__assert_fail.num_agpr)
	.set .L_ZN12_GLOBAL__N_17runRingI6__half10FuncMinMaxIS1_E11ProtoSimpleILi1ELi1ELi0ELi4ELi0ELi0EELi0ELi4ELi0EEEviiP15ncclDevWorkColl.numbered_sgpr, max(96, .L__assert_fail.numbered_sgpr)
	.set .L_ZN12_GLOBAL__N_17runRingI6__half10FuncMinMaxIS1_E11ProtoSimpleILi1ELi1ELi0ELi4ELi0ELi0EELi0ELi4ELi0EEEviiP15ncclDevWorkColl.num_named_barrier, max(0, .L__assert_fail.num_named_barrier)
	.set .L_ZN12_GLOBAL__N_17runRingI6__half10FuncMinMaxIS1_E11ProtoSimpleILi1ELi1ELi0ELi4ELi0ELi0EELi0ELi4ELi0EEEviiP15ncclDevWorkColl.private_seg_size, 256+max(.L__assert_fail.private_seg_size)
	.set .L_ZN12_GLOBAL__N_17runRingI6__half10FuncMinMaxIS1_E11ProtoSimpleILi1ELi1ELi0ELi4ELi0ELi0EELi0ELi4ELi0EEEviiP15ncclDevWorkColl.uses_vcc, or(1, .L__assert_fail.uses_vcc)
	.set .L_ZN12_GLOBAL__N_17runRingI6__half10FuncMinMaxIS1_E11ProtoSimpleILi1ELi1ELi0ELi4ELi0ELi0EELi0ELi4ELi0EEEviiP15ncclDevWorkColl.uses_flat_scratch, or(0, .L__assert_fail.uses_flat_scratch)
	.set .L_ZN12_GLOBAL__N_17runRingI6__half10FuncMinMaxIS1_E11ProtoSimpleILi1ELi1ELi0ELi4ELi0ELi0EELi0ELi4ELi0EEEviiP15ncclDevWorkColl.has_dyn_sized_stack, or(0, .L__assert_fail.has_dyn_sized_stack)
	.set .L_ZN12_GLOBAL__N_17runRingI6__half10FuncMinMaxIS1_E11ProtoSimpleILi1ELi1ELi0ELi4ELi0ELi0EELi0ELi4ELi0EEEviiP15ncclDevWorkColl.has_recursion, or(1, .L__assert_fail.has_recursion)
	.set .L_ZN12_GLOBAL__N_17runRingI6__half10FuncMinMaxIS1_E11ProtoSimpleILi1ELi1ELi0ELi4ELi0ELi0EELi0ELi4ELi0EEEviiP15ncclDevWorkColl.has_indirect_call, or(0, .L__assert_fail.has_indirect_call)
	.section	.AMDGPU.csdata,"",@progbits
; Function info:
; codeLenInByte = 44196
; TotalNumSgprs: 100
; NumVgprs: 64
; ScratchSize: 320
; MemoryBound: 1
	.text
	.p2align	2                               ; -- Begin function _Z47ncclDevFunc_Reduce_RING_SIMPLE_MinMax_f16_0_0_4v
	.type	_Z47ncclDevFunc_Reduce_RING_SIMPLE_MinMax_f16_0_0_4v,@function
_Z47ncclDevFunc_Reduce_RING_SIMPLE_MinMax_f16_0_0_4v: ; @_Z47ncclDevFunc_Reduce_RING_SIMPLE_MinMax_f16_0_0_4v
; %bb.0:
	s_waitcnt vmcnt(0) expcnt(0) lgkmcnt(0)
	s_mov_b32 s4, s33
	s_mov_b32 s33, s32
	s_or_saveexec_b64 s[6:7], -1
	buffer_store_dword v43, off, s[0:3], s33 offset:16 ; 4-byte Folded Spill
	s_mov_b64 exec, s[6:7]
	v_writelane_b32 v43, s4, 15
	s_addk_i32 s32, 0x800
	buffer_store_dword v40, off, s[0:3], s33 offset:12 ; 4-byte Folded Spill
	buffer_store_dword v41, off, s[0:3], s33 offset:8 ; 4-byte Folded Spill
	;; [unrolled: 1-line block ×3, first 2 shown]
	buffer_store_dword v63, off, s[0:3], s33 ; 4-byte Folded Spill
	v_writelane_b32 v43, s34, 0
	v_writelane_b32 v43, s35, 1
	v_writelane_b32 v43, s36, 2
	v_writelane_b32 v43, s37, 3
	v_writelane_b32 v43, s38, 4
	v_writelane_b32 v43, s39, 5
	v_writelane_b32 v43, s48, 6
	v_writelane_b32 v43, s49, 7
	v_writelane_b32 v43, s50, 8
	v_writelane_b32 v43, s51, 9
	v_writelane_b32 v43, s52, 10
	v_writelane_b32 v43, s53, 11
	v_writelane_b32 v43, s54, 12
	v_writelane_b32 v43, s30, 13
	v_writelane_b32 v43, s31, 14
	s_trap 2
	ds_read_b32 v0, v0
	v_mov_b32_e32 v40, v31
	v_and_b32_e32 v41, 0x3ff, v40
	s_mov_b32 s49, s12
	s_mov_b64 s[50:51], s[8:9]
	s_waitcnt lgkmcnt(0)
	v_cmp_lt_i32_e32 vcc, v41, v0
	s_and_saveexec_b64 s[4:5], vcc
	s_cbranch_execz .LBB7_5
; %bb.1:
	s_load_dword s6, s[50:51], 0x0
	v_mov_b32_e32 v1, 0
	s_mov_b32 s10, 0
	v_mov_b32_e32 v4, v41
                                        ; implicit-def: $vgpr3
	s_waitcnt lgkmcnt(0)
	s_cmp_lt_u32 s49, s6
	s_cselect_b32 s6, 12, 18
	s_add_u32 s6, s50, s6
	s_addc_u32 s7, s51, 0
	global_load_ushort v1, v1, s[6:7]
	s_trap 2
	ds_read_b32 v2, v0
	s_mov_b64 s[6:7], 0
	s_waitcnt vmcnt(0) lgkmcnt(0)
	v_mul_lo_u32 v2, v2, v1
	s_branch .LBB7_3
.LBB7_2:                                ;   in Loop: Header=BB7_3 Depth=1
	s_or_b64 exec, exec, s[8:9]
	v_add_u32_e32 v4, v4, v1
	v_cmp_ge_i32_e32 vcc, v4, v0
	s_or_b64 s[6:7], vcc, s[6:7]
	v_add_u32_e32 v3, v3, v2
	s_andn2_b64 exec, exec, s[6:7]
	s_cbranch_execz .LBB7_5
.LBB7_3:                                ; =>This Inner Loop Header: Depth=1
	ds_read_b32 v5, v3
	s_waitcnt lgkmcnt(0)
	v_and_b32_e32 v5, 0x1000000, v5
	v_cmp_ne_u32_e32 vcc, 0, v5
	s_and_saveexec_b64 s[8:9], vcc
	s_cbranch_execz .LBB7_2
; %bb.4:                                ;   in Loop: Header=BB7_3 Depth=1
	ds_read_b64 v[5:6], v3 offset:104
	s_waitcnt lgkmcnt(0)
	flat_load_ushort v5, v[5:6]
	v_mov_b32_e32 v6, s10
	s_waitcnt vmcnt(0) lgkmcnt(0)
	v_and_b32_e32 v5, 0xffff, v5
	ds_write_b64 v3, v[5:6] offset:104
	s_branch .LBB7_2
.LBB7_5:
	s_or_b64 exec, exec, s[4:5]
	s_waitcnt vmcnt(0) lgkmcnt(0)
	s_barrier
	s_trap 2
	ds_read_b32 v0, v0
	s_waitcnt lgkmcnt(0)
	v_cmp_gt_i32_e32 vcc, 1, v0
	s_cbranch_vccnz .LBB7_13
; %bb.6:
	s_mov_b32 s54, 0
	v_mov_b32_e32 v42, 6
	s_branch .LBB7_8
.LBB7_7:                                ;   in Loop: Header=BB7_8 Depth=1
	s_or_b64 exec, exec, s[52:53]
	s_trap 2
	ds_read_b32 v0, v0
	s_add_i32 s54, s54, 1
	s_waitcnt lgkmcnt(0)
	v_cmp_lt_i32_e32 vcc, s54, v0
	s_cbranch_vccz .LBB7_13
.LBB7_8:                                ; =>This Inner Loop Header: Depth=1
	s_trap 2
	ds_read_b32 v0, v0
	s_cmp_eq_u32 s54, 0
	s_cbranch_scc1 .LBB7_11
; %bb.9:                                ;   in Loop: Header=BB7_8 Depth=1
	s_trap 2
	s_waitcnt lgkmcnt(0)
	ds_read_b32 v1, v0
	s_waitcnt lgkmcnt(0)
	v_xor_b32_e32 v1, v1, v0
	v_and_b32_e32 v1, 0xff0000, v1
	v_cmp_eq_u32_e32 vcc, 0, v1
	s_cbranch_vccnz .LBB7_11
; %bb.10:                               ;   in Loop: Header=BB7_8 Depth=1
	s_barrier
	ds_read_b32 v0, v0
.LBB7_11:                               ;   in Loop: Header=BB7_8 Depth=1
	s_waitcnt lgkmcnt(0)
	v_lshlrev_b32_sdwa v1, v42, v0 dst_sel:DWORD dst_unused:UNUSED_PAD src0_sel:DWORD src1_sel:BYTE_2
	v_cmp_lt_u32_e32 vcc, v41, v1
	s_and_saveexec_b64 s[52:53], vcc
	s_cbranch_execz .LBB7_7
; %bb.12:                               ;   in Loop: Header=BB7_8 Depth=1
	s_mov_b64 s[4:5], src_shared_base
	s_getpc_b64 s[6:7]
	s_add_u32 s6, s6, _ZN12_GLOBAL__N_17runRingI6__half10FuncMinMaxIS1_E11ProtoSimpleILi1ELi1ELi0ELi4ELi0ELi0EELi0ELi4ELi0EEEviiP15ncclDevWorkColl@rel32@lo+4
	s_addc_u32 s7, s7, _ZN12_GLOBAL__N_17runRingI6__half10FuncMinMaxIS1_E11ProtoSimpleILi1ELi1ELi0ELi4ELi0ELi0EELi0ELi4ELi0EEEviiP15ncclDevWorkColl@rel32@hi+12
	s_mov_b64 s[8:9], s[50:51]
	s_mov_b32 s12, s49
	v_mov_b32_e32 v31, v40
	v_mov_b32_e32 v0, v41
	;; [unrolled: 1-line block ×3, first 2 shown]
	s_swappc_b64 s[30:31], s[6:7]
	s_branch .LBB7_7
.LBB7_13:
	buffer_load_dword v63, off, s[0:3], s33 ; 4-byte Folded Reload
	buffer_load_dword v42, off, s[0:3], s33 offset:4 ; 4-byte Folded Reload
	buffer_load_dword v41, off, s[0:3], s33 offset:8 ; 4-byte Folded Reload
	;; [unrolled: 1-line block ×3, first 2 shown]
	v_readlane_b32 s30, v43, 13
	v_readlane_b32 s31, v43, 14
	;; [unrolled: 1-line block ×15, first 2 shown]
	s_mov_b32 s32, s33
	v_readlane_b32 s4, v43, 15
	s_or_saveexec_b64 s[6:7], -1
	buffer_load_dword v43, off, s[0:3], s33 offset:16 ; 4-byte Folded Reload
	s_mov_b64 exec, s[6:7]
	s_mov_b32 s33, s4
	s_waitcnt vmcnt(0)
	s_setpc_b64 s[30:31]
.Lfunc_end7:
	.size	_Z47ncclDevFunc_Reduce_RING_SIMPLE_MinMax_f16_0_0_4v, .Lfunc_end7-_Z47ncclDevFunc_Reduce_RING_SIMPLE_MinMax_f16_0_0_4v
                                        ; -- End function
	.set .L_Z47ncclDevFunc_Reduce_RING_SIMPLE_MinMax_f16_0_0_4v.num_vgpr, max(64, .L_ZN12_GLOBAL__N_17runRingI6__half10FuncMinMaxIS1_E11ProtoSimpleILi1ELi1ELi0ELi4ELi0ELi0EELi0ELi4ELi0EEEviiP15ncclDevWorkColl.num_vgpr)
	.set .L_Z47ncclDevFunc_Reduce_RING_SIMPLE_MinMax_f16_0_0_4v.num_agpr, max(0, .L_ZN12_GLOBAL__N_17runRingI6__half10FuncMinMaxIS1_E11ProtoSimpleILi1ELi1ELi0ELi4ELi0ELi0EELi0ELi4ELi0EEEviiP15ncclDevWorkColl.num_agpr)
	.set .L_Z47ncclDevFunc_Reduce_RING_SIMPLE_MinMax_f16_0_0_4v.numbered_sgpr, max(55, .L_ZN12_GLOBAL__N_17runRingI6__half10FuncMinMaxIS1_E11ProtoSimpleILi1ELi1ELi0ELi4ELi0ELi0EELi0ELi4ELi0EEEviiP15ncclDevWorkColl.numbered_sgpr)
	.set .L_Z47ncclDevFunc_Reduce_RING_SIMPLE_MinMax_f16_0_0_4v.num_named_barrier, max(0, .L_ZN12_GLOBAL__N_17runRingI6__half10FuncMinMaxIS1_E11ProtoSimpleILi1ELi1ELi0ELi4ELi0ELi0EELi0ELi4ELi0EEEviiP15ncclDevWorkColl.num_named_barrier)
	.set .L_Z47ncclDevFunc_Reduce_RING_SIMPLE_MinMax_f16_0_0_4v.private_seg_size, 32+max(.L_ZN12_GLOBAL__N_17runRingI6__half10FuncMinMaxIS1_E11ProtoSimpleILi1ELi1ELi0ELi4ELi0ELi0EELi0ELi4ELi0EEEviiP15ncclDevWorkColl.private_seg_size)
	.set .L_Z47ncclDevFunc_Reduce_RING_SIMPLE_MinMax_f16_0_0_4v.uses_vcc, or(1, .L_ZN12_GLOBAL__N_17runRingI6__half10FuncMinMaxIS1_E11ProtoSimpleILi1ELi1ELi0ELi4ELi0ELi0EELi0ELi4ELi0EEEviiP15ncclDevWorkColl.uses_vcc)
	.set .L_Z47ncclDevFunc_Reduce_RING_SIMPLE_MinMax_f16_0_0_4v.uses_flat_scratch, or(0, .L_ZN12_GLOBAL__N_17runRingI6__half10FuncMinMaxIS1_E11ProtoSimpleILi1ELi1ELi0ELi4ELi0ELi0EELi0ELi4ELi0EEEviiP15ncclDevWorkColl.uses_flat_scratch)
	.set .L_Z47ncclDevFunc_Reduce_RING_SIMPLE_MinMax_f16_0_0_4v.has_dyn_sized_stack, or(0, .L_ZN12_GLOBAL__N_17runRingI6__half10FuncMinMaxIS1_E11ProtoSimpleILi1ELi1ELi0ELi4ELi0ELi0EELi0ELi4ELi0EEEviiP15ncclDevWorkColl.has_dyn_sized_stack)
	.set .L_Z47ncclDevFunc_Reduce_RING_SIMPLE_MinMax_f16_0_0_4v.has_recursion, or(1, .L_ZN12_GLOBAL__N_17runRingI6__half10FuncMinMaxIS1_E11ProtoSimpleILi1ELi1ELi0ELi4ELi0ELi0EELi0ELi4ELi0EEEviiP15ncclDevWorkColl.has_recursion)
	.set .L_Z47ncclDevFunc_Reduce_RING_SIMPLE_MinMax_f16_0_0_4v.has_indirect_call, or(0, .L_ZN12_GLOBAL__N_17runRingI6__half10FuncMinMaxIS1_E11ProtoSimpleILi1ELi1ELi0ELi4ELi0ELi0EELi0ELi4ELi0EEEviiP15ncclDevWorkColl.has_indirect_call)
	.section	.AMDGPU.csdata,"",@progbits
; Function info:
; codeLenInByte = 848
; TotalNumSgprs: 100
; NumVgprs: 64
; ScratchSize: 352
; MemoryBound: 0
	.section	.AMDGPU.gpr_maximums,"",@progbits
	.set amdgpu.max_num_vgpr, 64
	.set amdgpu.max_num_agpr, 0
	.set amdgpu.max_num_sgpr, 96
	.section	.AMDGPU.csdata,"",@progbits
	.type	__const.__assert_fail.fmt,@object ; @__const.__assert_fail.fmt
	.section	.rodata.str1.16,"aMS",@progbits,1
	.p2align	4, 0x0
__const.__assert_fail.fmt:
	.asciz	"%s:%u: %s: Device-side assertion `%s' failed.\n"
	.size	__const.__assert_fail.fmt, 47

	.type	.str.3,@object                  ; @.str.3
	.section	.rodata.str1.1,"aMS",@progbits,1
.str.3:
	.asciz	"2*(nrecv+nsend) <= nthreads"
	.size	.str.3, 28

	.type	.str.4,@object                  ; @.str.4
.str.4:
	.asciz	"/root/src/amdgpu-assembly/repos/ROCm__rccl/hipify/src/device/prims_simple.h"
	.size	.str.4, 76

	.type	__PRETTY_FUNCTION__._ZN10PrimitivesI6__half10FuncMinMaxIS0_E12FanSymmetricILi1EELi0E11ProtoSimpleILi1ELi1ELi0ELi1ELi0ELi0EELi0ELb0ELi0ELi0ELi0EEC2EiiPKiS9_PKvPvmhhhP15ncclDevWorkCollP14ncclDevWorkP2pii,@object ; @__PRETTY_FUNCTION__._ZN10PrimitivesI6__half10FuncMinMaxIS0_E12FanSymmetricILi1EELi0E11ProtoSimpleILi1ELi1ELi0ELi1ELi0ELi0EELi0ELb0ELi0ELi0ELi0EEC2EiiPKiS9_PKvPvmhhhP15ncclDevWorkCollP14ncclDevWorkP2pii
__PRETTY_FUNCTION__._ZN10PrimitivesI6__half10FuncMinMaxIS0_E12FanSymmetricILi1EELi0E11ProtoSimpleILi1ELi1ELi0ELi1ELi0ELi0EELi0ELb0ELi0ELi0ELi0EEC2EiiPKiS9_PKvPvmhhhP15ncclDevWorkCollP14ncclDevWorkP2pii:
	.asciz	"Primitives<__half, FuncMinMax<__half>, FanSymmetric<1>, 0, ProtoSimple<1, 1, 0, 1>, 0>::Primitives(int, int, const int *, const int *, const void *, void *, uint64_t, uint8_t, uint8_t, uint8_t, struct ncclDevWorkColl *, struct ncclDevWorkP2p *, int, int) [T = __half, RedOp = FuncMinMax<__half>, Fan = FanSymmetric<1>, Direct = 0, Proto = ProtoSimple<1, 1, 0, 1>, P2p = 0, isNetOffload = false, Metadata = 0, Pipeline = 0, useAcc = 0]"
	.size	__PRETTY_FUNCTION__._ZN10PrimitivesI6__half10FuncMinMaxIS0_E12FanSymmetricILi1EELi0E11ProtoSimpleILi1ELi1ELi0ELi1ELi0ELi0EELi0ELb0ELi0ELi0ELi0EEC2EiiPKiS9_PKvPvmhhhP15ncclDevWorkCollP14ncclDevWorkP2pii, 435

	.type	__PRETTY_FUNCTION__._ZN10PrimitivesI6__half10FuncMinMaxIS0_E12FanSymmetricILi1EELi0E11ProtoSimpleILi1ELi1ELi0ELi2ELi0ELi0EELi0ELb0ELi0ELi0ELi0EEC2EiiPKiS9_PKvPvmhhhP15ncclDevWorkCollP14ncclDevWorkP2pii,@object ; @__PRETTY_FUNCTION__._ZN10PrimitivesI6__half10FuncMinMaxIS0_E12FanSymmetricILi1EELi0E11ProtoSimpleILi1ELi1ELi0ELi2ELi0ELi0EELi0ELb0ELi0ELi0ELi0EEC2EiiPKiS9_PKvPvmhhhP15ncclDevWorkCollP14ncclDevWorkP2pii
__PRETTY_FUNCTION__._ZN10PrimitivesI6__half10FuncMinMaxIS0_E12FanSymmetricILi1EELi0E11ProtoSimpleILi1ELi1ELi0ELi2ELi0ELi0EELi0ELb0ELi0ELi0ELi0EEC2EiiPKiS9_PKvPvmhhhP15ncclDevWorkCollP14ncclDevWorkP2pii:
	.asciz	"Primitives<__half, FuncMinMax<__half>, FanSymmetric<1>, 0, ProtoSimple<1, 1, 0, 2>, 0>::Primitives(int, int, const int *, const int *, const void *, void *, uint64_t, uint8_t, uint8_t, uint8_t, struct ncclDevWorkColl *, struct ncclDevWorkP2p *, int, int) [T = __half, RedOp = FuncMinMax<__half>, Fan = FanSymmetric<1>, Direct = 0, Proto = ProtoSimple<1, 1, 0, 2>, P2p = 0, isNetOffload = false, Metadata = 0, Pipeline = 0, useAcc = 0]"
	.size	__PRETTY_FUNCTION__._ZN10PrimitivesI6__half10FuncMinMaxIS0_E12FanSymmetricILi1EELi0E11ProtoSimpleILi1ELi1ELi0ELi2ELi0ELi0EELi0ELb0ELi0ELi0ELi0EEC2EiiPKiS9_PKvPvmhhhP15ncclDevWorkCollP14ncclDevWorkP2pii, 435

	.type	__PRETTY_FUNCTION__._ZN10PrimitivesI6__half10FuncMinMaxIS0_E12FanSymmetricILi1EELi0E11ProtoSimpleILi1ELi1ELi0ELi4ELi0ELi0EELi0ELb0ELi0ELi0ELi0EEC2EiiPKiS9_PKvPvmhhhP15ncclDevWorkCollP14ncclDevWorkP2pii,@object ; @__PRETTY_FUNCTION__._ZN10PrimitivesI6__half10FuncMinMaxIS0_E12FanSymmetricILi1EELi0E11ProtoSimpleILi1ELi1ELi0ELi4ELi0ELi0EELi0ELb0ELi0ELi0ELi0EEC2EiiPKiS9_PKvPvmhhhP15ncclDevWorkCollP14ncclDevWorkP2pii
__PRETTY_FUNCTION__._ZN10PrimitivesI6__half10FuncMinMaxIS0_E12FanSymmetricILi1EELi0E11ProtoSimpleILi1ELi1ELi0ELi4ELi0ELi0EELi0ELb0ELi0ELi0ELi0EEC2EiiPKiS9_PKvPvmhhhP15ncclDevWorkCollP14ncclDevWorkP2pii:
	.asciz	"Primitives<__half, FuncMinMax<__half>, FanSymmetric<1>, 0, ProtoSimple<1, 1, 0, 4>, 0>::Primitives(int, int, const int *, const int *, const void *, void *, uint64_t, uint8_t, uint8_t, uint8_t, struct ncclDevWorkColl *, struct ncclDevWorkP2p *, int, int) [T = __half, RedOp = FuncMinMax<__half>, Fan = FanSymmetric<1>, Direct = 0, Proto = ProtoSimple<1, 1, 0, 4>, P2p = 0, isNetOffload = false, Metadata = 0, Pipeline = 0, useAcc = 0]"
	.size	__PRETTY_FUNCTION__._ZN10PrimitivesI6__half10FuncMinMaxIS0_E12FanSymmetricILi1EELi0E11ProtoSimpleILi1ELi1ELi0ELi4ELi0ELi0EELi0ELb0ELi0ELi0ELi0EEC2EiiPKiS9_PKvPvmhhhP15ncclDevWorkCollP14ncclDevWorkP2pii, 435

	.type	__hip_cuid_24817bbe794a6ff4,@object ; @__hip_cuid_24817bbe794a6ff4
	.section	.bss,"aw",@nobits
	.globl	__hip_cuid_24817bbe794a6ff4
__hip_cuid_24817bbe794a6ff4:
	.byte	0                               ; 0x0
	.size	__hip_cuid_24817bbe794a6ff4, 1

	.ident	"AMD clang version 22.0.0git (https://github.com/RadeonOpenCompute/llvm-project roc-7.2.4 26084 f58b06dce1f9c15707c5f808fd002e18c2accf7e)"
	.section	".note.GNU-stack","",@progbits
	.addrsig
	.addrsig_sym _Z47ncclDevFunc_Reduce_RING_SIMPLE_MinMax_f16_0_0_1v
	.addrsig_sym _Z47ncclDevFunc_Reduce_RING_SIMPLE_MinMax_f16_0_0_2v
	.addrsig_sym _Z47ncclDevFunc_Reduce_RING_SIMPLE_MinMax_f16_0_0_4v
	.addrsig_sym ncclShmem
	.addrsig_sym __hip_cuid_24817bbe794a6ff4
	.amdgpu_metadata
---
amdhsa.kernels:  []
amdhsa.target:   amdgcn-amd-amdhsa--gfx906
amdhsa.version:
  - 1
  - 2
...

	.end_amdgpu_metadata
